;; amdgpu-corpus repo=ROCm/rocBLAS kind=compiled arch=gfx906 opt=O3
	.amdgcn_target "amdgcn-amd-amdhsa--gfx906"
	.amdhsa_code_object_version 6
	.section	.text._ZL18rocblas_rot_kernelIiLi512EfPfS0_PKfS2_EviT2_lllT3_lllT4_lT5_li,"axG",@progbits,_ZL18rocblas_rot_kernelIiLi512EfPfS0_PKfS2_EviT2_lllT3_lllT4_lT5_li,comdat
	.globl	_ZL18rocblas_rot_kernelIiLi512EfPfS0_PKfS2_EviT2_lllT3_lllT4_lT5_li ; -- Begin function _ZL18rocblas_rot_kernelIiLi512EfPfS0_PKfS2_EviT2_lllT3_lllT4_lT5_li
	.p2align	8
	.type	_ZL18rocblas_rot_kernelIiLi512EfPfS0_PKfS2_EviT2_lllT3_lllT4_lT5_li,@function
_ZL18rocblas_rot_kernelIiLi512EfPfS0_PKfS2_EviT2_lllT3_lllT4_lT5_li: ; @_ZL18rocblas_rot_kernelIiLi512EfPfS0_PKfS2_EviT2_lllT3_lllT4_lT5_li
; %bb.0:
	s_load_dword s0, s[4:5], 0x0
	s_load_dword s2, s[4:5], 0x7c
	v_mov_b32_e32 v1, 0
	s_waitcnt lgkmcnt(0)
	s_ashr_i32 s1, s0, 31
	s_and_b32 s2, s2, 0xffff
	s_mul_i32 s6, s6, s2
	v_add_u32_e32 v0, s6, v0
	v_cmp_gt_i64_e32 vcc, s[0:1], v[0:1]
	s_and_saveexec_b64 s[0:1], vcc
	s_cbranch_execz .LBB0_2
; %bb.1:
	s_load_dwordx16 s[8:23], s[4:5], 0x8
	s_waitcnt lgkmcnt(0)
	s_mul_i32 s1, s23, s7
	s_mul_hi_u32 s2, s22, s7
	s_mul_i32 s0, s22, s7
	s_add_i32 s1, s2, s1
	s_lshl_b64 s[0:1], s[0:1], 2
	s_add_u32 s2, s16, s0
	s_addc_u32 s6, s17, s1
	s_lshl_b64 s[0:1], s[18:19], 2
	s_mul_i32 s3, s15, s7
	s_add_u32 s15, s2, s0
	s_mul_hi_u32 s0, s14, s7
	s_addc_u32 s6, s6, s1
	s_add_i32 s1, s0, s3
	s_mul_i32 s0, s14, s7
	s_lshl_b64 s[0:1], s[0:1], 2
	s_add_u32 s8, s8, s0
	s_addc_u32 s9, s9, s1
	v_mad_u64_u32 v[1:2], s[0:1], s12, v0, 0
	v_mad_u64_u32 v[3:4], s[2:3], s20, v0, 0
	s_lshl_b64 s[0:1], s[10:11], 2
	s_add_u32 s0, s8, s0
	v_mad_u64_u32 v[5:6], s[2:3], s13, v0, v[2:3]
	v_mov_b32_e32 v2, v4
	v_mad_u64_u32 v[6:7], s[2:3], s21, v0, v[2:3]
	v_mov_b32_e32 v2, v5
	v_lshlrev_b64 v[0:1], 2, v[1:2]
	s_addc_u32 s1, s9, s1
	v_mov_b32_e32 v4, v6
	v_mov_b32_e32 v2, s1
	v_add_co_u32_e32 v0, vcc, s0, v0
	v_addc_co_u32_e32 v1, vcc, v2, v1, vcc
	v_lshlrev_b64 v[2:3], 2, v[3:4]
	v_mov_b32_e32 v4, s6
	v_add_co_u32_e32 v2, vcc, s15, v2
	v_addc_co_u32_e32 v3, vcc, v4, v3, vcc
	global_load_dword v4, v[2:3], off
	global_load_dword v5, v[0:1], off
	s_load_dwordx8 s[8:15], s[4:5], 0x48
	s_waitcnt lgkmcnt(0)
	s_mul_i32 s1, s15, s7
	s_mul_hi_u32 s3, s14, s7
	s_mul_i32 s0, s14, s7
	s_add_i32 s1, s3, s1
	s_lshl_b64 s[0:1], s[0:1], 2
	s_mul_i32 s4, s11, s7
	s_mul_hi_u32 s5, s10, s7
	s_add_u32 s0, s12, s0
	s_mul_i32 s2, s10, s7
	s_addc_u32 s1, s13, s1
	s_add_i32 s3, s5, s4
	s_load_dword s4, s[0:1], 0x0
	s_lshl_b64 s[0:1], s[2:3], 2
	s_add_u32 s0, s8, s0
	s_addc_u32 s1, s9, s1
	s_load_dword s0, s[0:1], 0x0
	s_waitcnt vmcnt(1) lgkmcnt(0)
	v_mul_f32_e32 v6, s4, v4
	s_waitcnt vmcnt(0)
	v_fmac_f32_e32 v6, s0, v5
	v_mul_f32_e32 v5, s4, v5
	v_fma_f32 v4, s0, v4, -v5
	global_store_dword v[2:3], v4, off
	global_store_dword v[0:1], v6, off
.LBB0_2:
	s_endpgm
	.section	.rodata,"a",@progbits
	.p2align	6, 0x0
	.amdhsa_kernel _ZL18rocblas_rot_kernelIiLi512EfPfS0_PKfS2_EviT2_lllT3_lllT4_lT5_li
		.amdhsa_group_segment_fixed_size 0
		.amdhsa_private_segment_fixed_size 0
		.amdhsa_kernarg_size 368
		.amdhsa_user_sgpr_count 6
		.amdhsa_user_sgpr_private_segment_buffer 1
		.amdhsa_user_sgpr_dispatch_ptr 0
		.amdhsa_user_sgpr_queue_ptr 0
		.amdhsa_user_sgpr_kernarg_segment_ptr 1
		.amdhsa_user_sgpr_dispatch_id 0
		.amdhsa_user_sgpr_flat_scratch_init 0
		.amdhsa_user_sgpr_private_segment_size 0
		.amdhsa_uses_dynamic_stack 0
		.amdhsa_system_sgpr_private_segment_wavefront_offset 0
		.amdhsa_system_sgpr_workgroup_id_x 1
		.amdhsa_system_sgpr_workgroup_id_y 0
		.amdhsa_system_sgpr_workgroup_id_z 1
		.amdhsa_system_sgpr_workgroup_info 0
		.amdhsa_system_vgpr_workitem_id 0
		.amdhsa_next_free_vgpr 8
		.amdhsa_next_free_sgpr 24
		.amdhsa_reserve_vcc 1
		.amdhsa_reserve_flat_scratch 0
		.amdhsa_float_round_mode_32 0
		.amdhsa_float_round_mode_16_64 0
		.amdhsa_float_denorm_mode_32 3
		.amdhsa_float_denorm_mode_16_64 3
		.amdhsa_dx10_clamp 1
		.amdhsa_ieee_mode 1
		.amdhsa_fp16_overflow 0
		.amdhsa_exception_fp_ieee_invalid_op 0
		.amdhsa_exception_fp_denorm_src 0
		.amdhsa_exception_fp_ieee_div_zero 0
		.amdhsa_exception_fp_ieee_overflow 0
		.amdhsa_exception_fp_ieee_underflow 0
		.amdhsa_exception_fp_ieee_inexact 0
		.amdhsa_exception_int_div_zero 0
	.end_amdhsa_kernel
	.section	.text._ZL18rocblas_rot_kernelIiLi512EfPfS0_PKfS2_EviT2_lllT3_lllT4_lT5_li,"axG",@progbits,_ZL18rocblas_rot_kernelIiLi512EfPfS0_PKfS2_EviT2_lllT3_lllT4_lT5_li,comdat
.Lfunc_end0:
	.size	_ZL18rocblas_rot_kernelIiLi512EfPfS0_PKfS2_EviT2_lllT3_lllT4_lT5_li, .Lfunc_end0-_ZL18rocblas_rot_kernelIiLi512EfPfS0_PKfS2_EviT2_lllT3_lllT4_lT5_li
                                        ; -- End function
	.set _ZL18rocblas_rot_kernelIiLi512EfPfS0_PKfS2_EviT2_lllT3_lllT4_lT5_li.num_vgpr, 8
	.set _ZL18rocblas_rot_kernelIiLi512EfPfS0_PKfS2_EviT2_lllT3_lllT4_lT5_li.num_agpr, 0
	.set _ZL18rocblas_rot_kernelIiLi512EfPfS0_PKfS2_EviT2_lllT3_lllT4_lT5_li.numbered_sgpr, 24
	.set _ZL18rocblas_rot_kernelIiLi512EfPfS0_PKfS2_EviT2_lllT3_lllT4_lT5_li.num_named_barrier, 0
	.set _ZL18rocblas_rot_kernelIiLi512EfPfS0_PKfS2_EviT2_lllT3_lllT4_lT5_li.private_seg_size, 0
	.set _ZL18rocblas_rot_kernelIiLi512EfPfS0_PKfS2_EviT2_lllT3_lllT4_lT5_li.uses_vcc, 1
	.set _ZL18rocblas_rot_kernelIiLi512EfPfS0_PKfS2_EviT2_lllT3_lllT4_lT5_li.uses_flat_scratch, 0
	.set _ZL18rocblas_rot_kernelIiLi512EfPfS0_PKfS2_EviT2_lllT3_lllT4_lT5_li.has_dyn_sized_stack, 0
	.set _ZL18rocblas_rot_kernelIiLi512EfPfS0_PKfS2_EviT2_lllT3_lllT4_lT5_li.has_recursion, 0
	.set _ZL18rocblas_rot_kernelIiLi512EfPfS0_PKfS2_EviT2_lllT3_lllT4_lT5_li.has_indirect_call, 0
	.section	.AMDGPU.csdata,"",@progbits
; Kernel info:
; codeLenInByte = 380
; TotalNumSgprs: 28
; NumVgprs: 8
; ScratchSize: 0
; MemoryBound: 0
; FloatMode: 240
; IeeeMode: 1
; LDSByteSize: 0 bytes/workgroup (compile time only)
; SGPRBlocks: 3
; VGPRBlocks: 1
; NumSGPRsForWavesPerEU: 28
; NumVGPRsForWavesPerEU: 8
; Occupancy: 10
; WaveLimiterHint : 0
; COMPUTE_PGM_RSRC2:SCRATCH_EN: 0
; COMPUTE_PGM_RSRC2:USER_SGPR: 6
; COMPUTE_PGM_RSRC2:TRAP_HANDLER: 0
; COMPUTE_PGM_RSRC2:TGID_X_EN: 1
; COMPUTE_PGM_RSRC2:TGID_Y_EN: 0
; COMPUTE_PGM_RSRC2:TGID_Z_EN: 1
; COMPUTE_PGM_RSRC2:TIDIG_COMP_CNT: 0
	.section	.text._ZL18rocblas_rot_kernelIiLi512EfPfS0_ffEviT2_lllT3_lllT4_lT5_li,"axG",@progbits,_ZL18rocblas_rot_kernelIiLi512EfPfS0_ffEviT2_lllT3_lllT4_lT5_li,comdat
	.globl	_ZL18rocblas_rot_kernelIiLi512EfPfS0_ffEviT2_lllT3_lllT4_lT5_li ; -- Begin function _ZL18rocblas_rot_kernelIiLi512EfPfS0_ffEviT2_lllT3_lllT4_lT5_li
	.p2align	8
	.type	_ZL18rocblas_rot_kernelIiLi512EfPfS0_ffEviT2_lllT3_lllT4_lT5_li,@function
_ZL18rocblas_rot_kernelIiLi512EfPfS0_ffEviT2_lllT3_lllT4_lT5_li: ; @_ZL18rocblas_rot_kernelIiLi512EfPfS0_ffEviT2_lllT3_lllT4_lT5_li
; %bb.0:
	s_load_dword s0, s[4:5], 0x0
	s_load_dword s2, s[4:5], 0x7c
	v_mov_b32_e32 v1, 0
	s_waitcnt lgkmcnt(0)
	s_ashr_i32 s1, s0, 31
	s_and_b32 s2, s2, 0xffff
	s_mul_i32 s6, s6, s2
	v_add_u32_e32 v0, s6, v0
	v_cmp_gt_i64_e32 vcc, s[0:1], v[0:1]
	s_and_saveexec_b64 s[0:1], vcc
	s_cbranch_execz .LBB1_2
; %bb.1:
	s_load_dwordx16 s[8:23], s[4:5], 0x8
	s_waitcnt lgkmcnt(0)
	s_mul_i32 s1, s23, s7
	s_mul_hi_u32 s2, s22, s7
	s_mul_i32 s0, s22, s7
	s_add_i32 s1, s2, s1
	s_lshl_b64 s[0:1], s[0:1], 2
	s_add_u32 s2, s16, s0
	s_addc_u32 s6, s17, s1
	s_lshl_b64 s[0:1], s[18:19], 2
	s_mul_i32 s3, s15, s7
	s_add_u32 s15, s2, s0
	s_mul_hi_u32 s0, s14, s7
	s_addc_u32 s6, s6, s1
	s_add_i32 s1, s0, s3
	s_mul_i32 s0, s14, s7
	s_lshl_b64 s[0:1], s[0:1], 2
	s_add_u32 s7, s8, s0
	s_addc_u32 s8, s9, s1
	v_mad_u64_u32 v[1:2], s[0:1], s12, v0, 0
	v_mad_u64_u32 v[3:4], s[2:3], s20, v0, 0
	s_lshl_b64 s[0:1], s[10:11], 2
	s_add_u32 s0, s7, s0
	v_mad_u64_u32 v[5:6], s[2:3], s13, v0, v[2:3]
	v_mov_b32_e32 v2, v4
	v_mad_u64_u32 v[6:7], s[2:3], s21, v0, v[2:3]
	v_mov_b32_e32 v2, v5
	v_lshlrev_b64 v[0:1], 2, v[1:2]
	s_addc_u32 s1, s8, s1
	v_mov_b32_e32 v4, v6
	v_mov_b32_e32 v2, s1
	v_add_co_u32_e32 v0, vcc, s0, v0
	v_addc_co_u32_e32 v1, vcc, v2, v1, vcc
	v_lshlrev_b64 v[2:3], 2, v[3:4]
	v_mov_b32_e32 v4, s6
	v_add_co_u32_e32 v2, vcc, s15, v2
	v_addc_co_u32_e32 v3, vcc, v4, v3, vcc
	global_load_dword v4, v[2:3], off
	global_load_dword v5, v[0:1], off
	s_load_dword s0, s[4:5], 0x58
	s_load_dword s1, s[4:5], 0x48
	s_waitcnt vmcnt(1) lgkmcnt(0)
	v_mul_f32_e32 v6, s0, v4
	s_waitcnt vmcnt(0)
	v_fmac_f32_e32 v6, s1, v5
	v_mul_f32_e32 v5, s0, v5
	v_fma_f32 v4, s1, v4, -v5
	global_store_dword v[2:3], v4, off
	global_store_dword v[0:1], v6, off
.LBB1_2:
	s_endpgm
	.section	.rodata,"a",@progbits
	.p2align	6, 0x0
	.amdhsa_kernel _ZL18rocblas_rot_kernelIiLi512EfPfS0_ffEviT2_lllT3_lllT4_lT5_li
		.amdhsa_group_segment_fixed_size 0
		.amdhsa_private_segment_fixed_size 0
		.amdhsa_kernarg_size 368
		.amdhsa_user_sgpr_count 6
		.amdhsa_user_sgpr_private_segment_buffer 1
		.amdhsa_user_sgpr_dispatch_ptr 0
		.amdhsa_user_sgpr_queue_ptr 0
		.amdhsa_user_sgpr_kernarg_segment_ptr 1
		.amdhsa_user_sgpr_dispatch_id 0
		.amdhsa_user_sgpr_flat_scratch_init 0
		.amdhsa_user_sgpr_private_segment_size 0
		.amdhsa_uses_dynamic_stack 0
		.amdhsa_system_sgpr_private_segment_wavefront_offset 0
		.amdhsa_system_sgpr_workgroup_id_x 1
		.amdhsa_system_sgpr_workgroup_id_y 0
		.amdhsa_system_sgpr_workgroup_id_z 1
		.amdhsa_system_sgpr_workgroup_info 0
		.amdhsa_system_vgpr_workitem_id 0
		.amdhsa_next_free_vgpr 8
		.amdhsa_next_free_sgpr 24
		.amdhsa_reserve_vcc 1
		.amdhsa_reserve_flat_scratch 0
		.amdhsa_float_round_mode_32 0
		.amdhsa_float_round_mode_16_64 0
		.amdhsa_float_denorm_mode_32 3
		.amdhsa_float_denorm_mode_16_64 3
		.amdhsa_dx10_clamp 1
		.amdhsa_ieee_mode 1
		.amdhsa_fp16_overflow 0
		.amdhsa_exception_fp_ieee_invalid_op 0
		.amdhsa_exception_fp_denorm_src 0
		.amdhsa_exception_fp_ieee_div_zero 0
		.amdhsa_exception_fp_ieee_overflow 0
		.amdhsa_exception_fp_ieee_underflow 0
		.amdhsa_exception_fp_ieee_inexact 0
		.amdhsa_exception_int_div_zero 0
	.end_amdhsa_kernel
	.section	.text._ZL18rocblas_rot_kernelIiLi512EfPfS0_ffEviT2_lllT3_lllT4_lT5_li,"axG",@progbits,_ZL18rocblas_rot_kernelIiLi512EfPfS0_ffEviT2_lllT3_lllT4_lT5_li,comdat
.Lfunc_end1:
	.size	_ZL18rocblas_rot_kernelIiLi512EfPfS0_ffEviT2_lllT3_lllT4_lT5_li, .Lfunc_end1-_ZL18rocblas_rot_kernelIiLi512EfPfS0_ffEviT2_lllT3_lllT4_lT5_li
                                        ; -- End function
	.set _ZL18rocblas_rot_kernelIiLi512EfPfS0_ffEviT2_lllT3_lllT4_lT5_li.num_vgpr, 8
	.set _ZL18rocblas_rot_kernelIiLi512EfPfS0_ffEviT2_lllT3_lllT4_lT5_li.num_agpr, 0
	.set _ZL18rocblas_rot_kernelIiLi512EfPfS0_ffEviT2_lllT3_lllT4_lT5_li.numbered_sgpr, 24
	.set _ZL18rocblas_rot_kernelIiLi512EfPfS0_ffEviT2_lllT3_lllT4_lT5_li.num_named_barrier, 0
	.set _ZL18rocblas_rot_kernelIiLi512EfPfS0_ffEviT2_lllT3_lllT4_lT5_li.private_seg_size, 0
	.set _ZL18rocblas_rot_kernelIiLi512EfPfS0_ffEviT2_lllT3_lllT4_lT5_li.uses_vcc, 1
	.set _ZL18rocblas_rot_kernelIiLi512EfPfS0_ffEviT2_lllT3_lllT4_lT5_li.uses_flat_scratch, 0
	.set _ZL18rocblas_rot_kernelIiLi512EfPfS0_ffEviT2_lllT3_lllT4_lT5_li.has_dyn_sized_stack, 0
	.set _ZL18rocblas_rot_kernelIiLi512EfPfS0_ffEviT2_lllT3_lllT4_lT5_li.has_recursion, 0
	.set _ZL18rocblas_rot_kernelIiLi512EfPfS0_ffEviT2_lllT3_lllT4_lT5_li.has_indirect_call, 0
	.section	.AMDGPU.csdata,"",@progbits
; Kernel info:
; codeLenInByte = 312
; TotalNumSgprs: 28
; NumVgprs: 8
; ScratchSize: 0
; MemoryBound: 0
; FloatMode: 240
; IeeeMode: 1
; LDSByteSize: 0 bytes/workgroup (compile time only)
; SGPRBlocks: 3
; VGPRBlocks: 1
; NumSGPRsForWavesPerEU: 28
; NumVGPRsForWavesPerEU: 8
; Occupancy: 10
; WaveLimiterHint : 0
; COMPUTE_PGM_RSRC2:SCRATCH_EN: 0
; COMPUTE_PGM_RSRC2:USER_SGPR: 6
; COMPUTE_PGM_RSRC2:TRAP_HANDLER: 0
; COMPUTE_PGM_RSRC2:TGID_X_EN: 1
; COMPUTE_PGM_RSRC2:TGID_Y_EN: 0
; COMPUTE_PGM_RSRC2:TGID_Z_EN: 1
; COMPUTE_PGM_RSRC2:TIDIG_COMP_CNT: 0
	.section	.text._ZL18rocblas_rot_kernelIiLi512EdPdS0_PKdS2_EviT2_lllT3_lllT4_lT5_li,"axG",@progbits,_ZL18rocblas_rot_kernelIiLi512EdPdS0_PKdS2_EviT2_lllT3_lllT4_lT5_li,comdat
	.globl	_ZL18rocblas_rot_kernelIiLi512EdPdS0_PKdS2_EviT2_lllT3_lllT4_lT5_li ; -- Begin function _ZL18rocblas_rot_kernelIiLi512EdPdS0_PKdS2_EviT2_lllT3_lllT4_lT5_li
	.p2align	8
	.type	_ZL18rocblas_rot_kernelIiLi512EdPdS0_PKdS2_EviT2_lllT3_lllT4_lT5_li,@function
_ZL18rocblas_rot_kernelIiLi512EdPdS0_PKdS2_EviT2_lllT3_lllT4_lT5_li: ; @_ZL18rocblas_rot_kernelIiLi512EdPdS0_PKdS2_EviT2_lllT3_lllT4_lT5_li
; %bb.0:
	s_load_dword s0, s[4:5], 0x0
	s_load_dword s2, s[4:5], 0x7c
	v_mov_b32_e32 v1, 0
	s_waitcnt lgkmcnt(0)
	s_ashr_i32 s1, s0, 31
	s_and_b32 s2, s2, 0xffff
	s_mul_i32 s6, s6, s2
	v_add_u32_e32 v0, s6, v0
	v_cmp_gt_i64_e32 vcc, s[0:1], v[0:1]
	s_and_saveexec_b64 s[0:1], vcc
	s_cbranch_execz .LBB2_2
; %bb.1:
	s_load_dwordx16 s[8:23], s[4:5], 0x8
	s_waitcnt lgkmcnt(0)
	s_mul_i32 s1, s23, s7
	s_mul_hi_u32 s2, s22, s7
	s_mul_i32 s0, s22, s7
	s_add_i32 s1, s2, s1
	s_lshl_b64 s[0:1], s[0:1], 3
	s_add_u32 s2, s16, s0
	s_addc_u32 s6, s17, s1
	s_lshl_b64 s[0:1], s[18:19], 3
	s_mul_i32 s3, s15, s7
	s_add_u32 s15, s2, s0
	s_mul_hi_u32 s0, s14, s7
	s_addc_u32 s6, s6, s1
	s_add_i32 s1, s0, s3
	s_mul_i32 s0, s14, s7
	s_lshl_b64 s[0:1], s[0:1], 3
	s_add_u32 s8, s8, s0
	s_addc_u32 s9, s9, s1
	v_mad_u64_u32 v[1:2], s[0:1], s12, v0, 0
	v_mad_u64_u32 v[3:4], s[2:3], s20, v0, 0
	s_lshl_b64 s[0:1], s[10:11], 3
	s_add_u32 s0, s8, s0
	v_mad_u64_u32 v[5:6], s[2:3], s13, v0, v[2:3]
	v_mov_b32_e32 v2, v4
	v_mad_u64_u32 v[6:7], s[2:3], s21, v0, v[2:3]
	v_mov_b32_e32 v2, v5
	v_lshlrev_b64 v[0:1], 3, v[1:2]
	s_addc_u32 s1, s9, s1
	v_mov_b32_e32 v4, v6
	v_mov_b32_e32 v2, s1
	v_add_co_u32_e32 v0, vcc, s0, v0
	v_addc_co_u32_e32 v1, vcc, v2, v1, vcc
	v_lshlrev_b64 v[2:3], 3, v[3:4]
	v_mov_b32_e32 v4, s6
	v_add_co_u32_e32 v2, vcc, s15, v2
	global_load_dwordx2 v[5:6], v[0:1], off
	v_addc_co_u32_e32 v3, vcc, v4, v3, vcc
	global_load_dwordx2 v[7:8], v[2:3], off
	s_load_dwordx8 s[8:15], s[4:5], 0x48
	s_waitcnt lgkmcnt(0)
	s_mul_i32 s1, s15, s7
	s_mul_hi_u32 s2, s14, s7
	s_mul_i32 s0, s14, s7
	s_add_i32 s1, s2, s1
	s_lshl_b64 s[0:1], s[0:1], 3
	s_add_u32 s0, s12, s0
	s_addc_u32 s1, s13, s1
	s_load_dwordx2 s[0:1], s[0:1], 0x0
	s_mul_i32 s3, s11, s7
	s_mul_hi_u32 s4, s10, s7
	s_mul_i32 s2, s10, s7
	s_add_i32 s3, s4, s3
	s_lshl_b64 s[2:3], s[2:3], 3
	s_add_u32 s2, s8, s2
	s_addc_u32 s3, s9, s3
	s_waitcnt vmcnt(1) lgkmcnt(0)
	v_mul_f64 v[9:10], s[0:1], v[5:6]
	s_waitcnt vmcnt(0)
	v_mul_f64 v[11:12], s[0:1], v[7:8]
	s_load_dwordx2 s[0:1], s[2:3], 0x0
	s_waitcnt lgkmcnt(0)
	v_fma_f64 v[7:8], s[0:1], v[7:8], -v[9:10]
	v_fma_f64 v[4:5], s[0:1], v[5:6], v[11:12]
	global_store_dwordx2 v[2:3], v[7:8], off
	global_store_dwordx2 v[0:1], v[4:5], off
.LBB2_2:
	s_endpgm
	.section	.rodata,"a",@progbits
	.p2align	6, 0x0
	.amdhsa_kernel _ZL18rocblas_rot_kernelIiLi512EdPdS0_PKdS2_EviT2_lllT3_lllT4_lT5_li
		.amdhsa_group_segment_fixed_size 0
		.amdhsa_private_segment_fixed_size 0
		.amdhsa_kernarg_size 368
		.amdhsa_user_sgpr_count 6
		.amdhsa_user_sgpr_private_segment_buffer 1
		.amdhsa_user_sgpr_dispatch_ptr 0
		.amdhsa_user_sgpr_queue_ptr 0
		.amdhsa_user_sgpr_kernarg_segment_ptr 1
		.amdhsa_user_sgpr_dispatch_id 0
		.amdhsa_user_sgpr_flat_scratch_init 0
		.amdhsa_user_sgpr_private_segment_size 0
		.amdhsa_uses_dynamic_stack 0
		.amdhsa_system_sgpr_private_segment_wavefront_offset 0
		.amdhsa_system_sgpr_workgroup_id_x 1
		.amdhsa_system_sgpr_workgroup_id_y 0
		.amdhsa_system_sgpr_workgroup_id_z 1
		.amdhsa_system_sgpr_workgroup_info 0
		.amdhsa_system_vgpr_workitem_id 0
		.amdhsa_next_free_vgpr 13
		.amdhsa_next_free_sgpr 24
		.amdhsa_reserve_vcc 1
		.amdhsa_reserve_flat_scratch 0
		.amdhsa_float_round_mode_32 0
		.amdhsa_float_round_mode_16_64 0
		.amdhsa_float_denorm_mode_32 3
		.amdhsa_float_denorm_mode_16_64 3
		.amdhsa_dx10_clamp 1
		.amdhsa_ieee_mode 1
		.amdhsa_fp16_overflow 0
		.amdhsa_exception_fp_ieee_invalid_op 0
		.amdhsa_exception_fp_denorm_src 0
		.amdhsa_exception_fp_ieee_div_zero 0
		.amdhsa_exception_fp_ieee_overflow 0
		.amdhsa_exception_fp_ieee_underflow 0
		.amdhsa_exception_fp_ieee_inexact 0
		.amdhsa_exception_int_div_zero 0
	.end_amdhsa_kernel
	.section	.text._ZL18rocblas_rot_kernelIiLi512EdPdS0_PKdS2_EviT2_lllT3_lllT4_lT5_li,"axG",@progbits,_ZL18rocblas_rot_kernelIiLi512EdPdS0_PKdS2_EviT2_lllT3_lllT4_lT5_li,comdat
.Lfunc_end2:
	.size	_ZL18rocblas_rot_kernelIiLi512EdPdS0_PKdS2_EviT2_lllT3_lllT4_lT5_li, .Lfunc_end2-_ZL18rocblas_rot_kernelIiLi512EdPdS0_PKdS2_EviT2_lllT3_lllT4_lT5_li
                                        ; -- End function
	.set _ZL18rocblas_rot_kernelIiLi512EdPdS0_PKdS2_EviT2_lllT3_lllT4_lT5_li.num_vgpr, 13
	.set _ZL18rocblas_rot_kernelIiLi512EdPdS0_PKdS2_EviT2_lllT3_lllT4_lT5_li.num_agpr, 0
	.set _ZL18rocblas_rot_kernelIiLi512EdPdS0_PKdS2_EviT2_lllT3_lllT4_lT5_li.numbered_sgpr, 24
	.set _ZL18rocblas_rot_kernelIiLi512EdPdS0_PKdS2_EviT2_lllT3_lllT4_lT5_li.num_named_barrier, 0
	.set _ZL18rocblas_rot_kernelIiLi512EdPdS0_PKdS2_EviT2_lllT3_lllT4_lT5_li.private_seg_size, 0
	.set _ZL18rocblas_rot_kernelIiLi512EdPdS0_PKdS2_EviT2_lllT3_lllT4_lT5_li.uses_vcc, 1
	.set _ZL18rocblas_rot_kernelIiLi512EdPdS0_PKdS2_EviT2_lllT3_lllT4_lT5_li.uses_flat_scratch, 0
	.set _ZL18rocblas_rot_kernelIiLi512EdPdS0_PKdS2_EviT2_lllT3_lllT4_lT5_li.has_dyn_sized_stack, 0
	.set _ZL18rocblas_rot_kernelIiLi512EdPdS0_PKdS2_EviT2_lllT3_lllT4_lT5_li.has_recursion, 0
	.set _ZL18rocblas_rot_kernelIiLi512EdPdS0_PKdS2_EviT2_lllT3_lllT4_lT5_li.has_indirect_call, 0
	.section	.AMDGPU.csdata,"",@progbits
; Kernel info:
; codeLenInByte = 396
; TotalNumSgprs: 28
; NumVgprs: 13
; ScratchSize: 0
; MemoryBound: 0
; FloatMode: 240
; IeeeMode: 1
; LDSByteSize: 0 bytes/workgroup (compile time only)
; SGPRBlocks: 3
; VGPRBlocks: 3
; NumSGPRsForWavesPerEU: 28
; NumVGPRsForWavesPerEU: 13
; Occupancy: 10
; WaveLimiterHint : 0
; COMPUTE_PGM_RSRC2:SCRATCH_EN: 0
; COMPUTE_PGM_RSRC2:USER_SGPR: 6
; COMPUTE_PGM_RSRC2:TRAP_HANDLER: 0
; COMPUTE_PGM_RSRC2:TGID_X_EN: 1
; COMPUTE_PGM_RSRC2:TGID_Y_EN: 0
; COMPUTE_PGM_RSRC2:TGID_Z_EN: 1
; COMPUTE_PGM_RSRC2:TIDIG_COMP_CNT: 0
	.section	.text._ZL18rocblas_rot_kernelIiLi512EdPdS0_ddEviT2_lllT3_lllT4_lT5_li,"axG",@progbits,_ZL18rocblas_rot_kernelIiLi512EdPdS0_ddEviT2_lllT3_lllT4_lT5_li,comdat
	.globl	_ZL18rocblas_rot_kernelIiLi512EdPdS0_ddEviT2_lllT3_lllT4_lT5_li ; -- Begin function _ZL18rocblas_rot_kernelIiLi512EdPdS0_ddEviT2_lllT3_lllT4_lT5_li
	.p2align	8
	.type	_ZL18rocblas_rot_kernelIiLi512EdPdS0_ddEviT2_lllT3_lllT4_lT5_li,@function
_ZL18rocblas_rot_kernelIiLi512EdPdS0_ddEviT2_lllT3_lllT4_lT5_li: ; @_ZL18rocblas_rot_kernelIiLi512EdPdS0_ddEviT2_lllT3_lllT4_lT5_li
; %bb.0:
	s_load_dword s0, s[4:5], 0x0
	s_load_dword s2, s[4:5], 0x7c
	v_mov_b32_e32 v1, 0
	s_waitcnt lgkmcnt(0)
	s_ashr_i32 s1, s0, 31
	s_and_b32 s2, s2, 0xffff
	s_mul_i32 s6, s6, s2
	v_add_u32_e32 v0, s6, v0
	v_cmp_gt_i64_e32 vcc, s[0:1], v[0:1]
	s_and_saveexec_b64 s[0:1], vcc
	s_cbranch_execz .LBB3_2
; %bb.1:
	s_load_dwordx16 s[8:23], s[4:5], 0x8
	s_waitcnt lgkmcnt(0)
	s_mul_i32 s1, s23, s7
	s_mul_hi_u32 s2, s22, s7
	s_mul_i32 s0, s22, s7
	s_add_i32 s1, s2, s1
	s_lshl_b64 s[0:1], s[0:1], 3
	s_add_u32 s2, s16, s0
	s_addc_u32 s6, s17, s1
	s_lshl_b64 s[0:1], s[18:19], 3
	s_mul_i32 s3, s15, s7
	s_add_u32 s15, s2, s0
	s_mul_hi_u32 s0, s14, s7
	s_addc_u32 s6, s6, s1
	s_add_i32 s1, s0, s3
	s_mul_i32 s0, s14, s7
	s_lshl_b64 s[0:1], s[0:1], 3
	s_add_u32 s7, s8, s0
	s_addc_u32 s8, s9, s1
	v_mad_u64_u32 v[1:2], s[0:1], s12, v0, 0
	v_mad_u64_u32 v[3:4], s[2:3], s20, v0, 0
	s_lshl_b64 s[0:1], s[10:11], 3
	s_add_u32 s0, s7, s0
	v_mad_u64_u32 v[5:6], s[2:3], s13, v0, v[2:3]
	v_mov_b32_e32 v2, v4
	v_mad_u64_u32 v[6:7], s[2:3], s21, v0, v[2:3]
	v_mov_b32_e32 v2, v5
	v_lshlrev_b64 v[0:1], 3, v[1:2]
	s_addc_u32 s1, s8, s1
	v_mov_b32_e32 v4, v6
	v_mov_b32_e32 v2, s1
	v_add_co_u32_e32 v0, vcc, s0, v0
	v_addc_co_u32_e32 v1, vcc, v2, v1, vcc
	v_lshlrev_b64 v[2:3], 3, v[3:4]
	v_mov_b32_e32 v4, s6
	v_add_co_u32_e32 v2, vcc, s15, v2
	global_load_dwordx2 v[5:6], v[0:1], off
	v_addc_co_u32_e32 v3, vcc, v4, v3, vcc
	global_load_dwordx2 v[7:8], v[2:3], off
	s_load_dwordx2 s[0:1], s[4:5], 0x58
	s_waitcnt vmcnt(1) lgkmcnt(0)
	v_mul_f64 v[9:10], s[0:1], v[5:6]
	s_waitcnt vmcnt(0)
	v_mul_f64 v[11:12], s[0:1], v[7:8]
	s_load_dwordx2 s[0:1], s[4:5], 0x48
	s_waitcnt lgkmcnt(0)
	v_fma_f64 v[7:8], s[0:1], v[7:8], -v[9:10]
	v_fma_f64 v[4:5], s[0:1], v[5:6], v[11:12]
	global_store_dwordx2 v[2:3], v[7:8], off
	global_store_dwordx2 v[0:1], v[4:5], off
.LBB3_2:
	s_endpgm
	.section	.rodata,"a",@progbits
	.p2align	6, 0x0
	.amdhsa_kernel _ZL18rocblas_rot_kernelIiLi512EdPdS0_ddEviT2_lllT3_lllT4_lT5_li
		.amdhsa_group_segment_fixed_size 0
		.amdhsa_private_segment_fixed_size 0
		.amdhsa_kernarg_size 368
		.amdhsa_user_sgpr_count 6
		.amdhsa_user_sgpr_private_segment_buffer 1
		.amdhsa_user_sgpr_dispatch_ptr 0
		.amdhsa_user_sgpr_queue_ptr 0
		.amdhsa_user_sgpr_kernarg_segment_ptr 1
		.amdhsa_user_sgpr_dispatch_id 0
		.amdhsa_user_sgpr_flat_scratch_init 0
		.amdhsa_user_sgpr_private_segment_size 0
		.amdhsa_uses_dynamic_stack 0
		.amdhsa_system_sgpr_private_segment_wavefront_offset 0
		.amdhsa_system_sgpr_workgroup_id_x 1
		.amdhsa_system_sgpr_workgroup_id_y 0
		.amdhsa_system_sgpr_workgroup_id_z 1
		.amdhsa_system_sgpr_workgroup_info 0
		.amdhsa_system_vgpr_workitem_id 0
		.amdhsa_next_free_vgpr 13
		.amdhsa_next_free_sgpr 24
		.amdhsa_reserve_vcc 1
		.amdhsa_reserve_flat_scratch 0
		.amdhsa_float_round_mode_32 0
		.amdhsa_float_round_mode_16_64 0
		.amdhsa_float_denorm_mode_32 3
		.amdhsa_float_denorm_mode_16_64 3
		.amdhsa_dx10_clamp 1
		.amdhsa_ieee_mode 1
		.amdhsa_fp16_overflow 0
		.amdhsa_exception_fp_ieee_invalid_op 0
		.amdhsa_exception_fp_denorm_src 0
		.amdhsa_exception_fp_ieee_div_zero 0
		.amdhsa_exception_fp_ieee_overflow 0
		.amdhsa_exception_fp_ieee_underflow 0
		.amdhsa_exception_fp_ieee_inexact 0
		.amdhsa_exception_int_div_zero 0
	.end_amdhsa_kernel
	.section	.text._ZL18rocblas_rot_kernelIiLi512EdPdS0_ddEviT2_lllT3_lllT4_lT5_li,"axG",@progbits,_ZL18rocblas_rot_kernelIiLi512EdPdS0_ddEviT2_lllT3_lllT4_lT5_li,comdat
.Lfunc_end3:
	.size	_ZL18rocblas_rot_kernelIiLi512EdPdS0_ddEviT2_lllT3_lllT4_lT5_li, .Lfunc_end3-_ZL18rocblas_rot_kernelIiLi512EdPdS0_ddEviT2_lllT3_lllT4_lT5_li
                                        ; -- End function
	.set _ZL18rocblas_rot_kernelIiLi512EdPdS0_ddEviT2_lllT3_lllT4_lT5_li.num_vgpr, 13
	.set _ZL18rocblas_rot_kernelIiLi512EdPdS0_ddEviT2_lllT3_lllT4_lT5_li.num_agpr, 0
	.set _ZL18rocblas_rot_kernelIiLi512EdPdS0_ddEviT2_lllT3_lllT4_lT5_li.numbered_sgpr, 24
	.set _ZL18rocblas_rot_kernelIiLi512EdPdS0_ddEviT2_lllT3_lllT4_lT5_li.num_named_barrier, 0
	.set _ZL18rocblas_rot_kernelIiLi512EdPdS0_ddEviT2_lllT3_lllT4_lT5_li.private_seg_size, 0
	.set _ZL18rocblas_rot_kernelIiLi512EdPdS0_ddEviT2_lllT3_lllT4_lT5_li.uses_vcc, 1
	.set _ZL18rocblas_rot_kernelIiLi512EdPdS0_ddEviT2_lllT3_lllT4_lT5_li.uses_flat_scratch, 0
	.set _ZL18rocblas_rot_kernelIiLi512EdPdS0_ddEviT2_lllT3_lllT4_lT5_li.has_dyn_sized_stack, 0
	.set _ZL18rocblas_rot_kernelIiLi512EdPdS0_ddEviT2_lllT3_lllT4_lT5_li.has_recursion, 0
	.set _ZL18rocblas_rot_kernelIiLi512EdPdS0_ddEviT2_lllT3_lllT4_lT5_li.has_indirect_call, 0
	.section	.AMDGPU.csdata,"",@progbits
; Kernel info:
; codeLenInByte = 328
; TotalNumSgprs: 28
; NumVgprs: 13
; ScratchSize: 0
; MemoryBound: 0
; FloatMode: 240
; IeeeMode: 1
; LDSByteSize: 0 bytes/workgroup (compile time only)
; SGPRBlocks: 3
; VGPRBlocks: 3
; NumSGPRsForWavesPerEU: 28
; NumVGPRsForWavesPerEU: 13
; Occupancy: 10
; WaveLimiterHint : 0
; COMPUTE_PGM_RSRC2:SCRATCH_EN: 0
; COMPUTE_PGM_RSRC2:USER_SGPR: 6
; COMPUTE_PGM_RSRC2:TRAP_HANDLER: 0
; COMPUTE_PGM_RSRC2:TGID_X_EN: 1
; COMPUTE_PGM_RSRC2:TGID_Y_EN: 0
; COMPUTE_PGM_RSRC2:TGID_Z_EN: 1
; COMPUTE_PGM_RSRC2:TIDIG_COMP_CNT: 0
	.section	.text._ZL18rocblas_rot_kernelIiLi512EfP16rocblas_bfloat16S1_PKS0_S3_EviT2_lllT3_lllT4_lT5_li,"axG",@progbits,_ZL18rocblas_rot_kernelIiLi512EfP16rocblas_bfloat16S1_PKS0_S3_EviT2_lllT3_lllT4_lT5_li,comdat
	.globl	_ZL18rocblas_rot_kernelIiLi512EfP16rocblas_bfloat16S1_PKS0_S3_EviT2_lllT3_lllT4_lT5_li ; -- Begin function _ZL18rocblas_rot_kernelIiLi512EfP16rocblas_bfloat16S1_PKS0_S3_EviT2_lllT3_lllT4_lT5_li
	.p2align	8
	.type	_ZL18rocblas_rot_kernelIiLi512EfP16rocblas_bfloat16S1_PKS0_S3_EviT2_lllT3_lllT4_lT5_li,@function
_ZL18rocblas_rot_kernelIiLi512EfP16rocblas_bfloat16S1_PKS0_S3_EviT2_lllT3_lllT4_lT5_li: ; @_ZL18rocblas_rot_kernelIiLi512EfP16rocblas_bfloat16S1_PKS0_S3_EviT2_lllT3_lllT4_lT5_li
; %bb.0:
	s_load_dword s0, s[4:5], 0x0
	s_load_dword s2, s[4:5], 0x7c
	v_mov_b32_e32 v3, 0
	s_waitcnt lgkmcnt(0)
	s_ashr_i32 s1, s0, 31
	s_and_b32 s2, s2, 0xffff
	s_mul_i32 s6, s6, s2
	v_add_u32_e32 v2, s6, v0
	v_cmp_gt_i64_e32 vcc, s[0:1], v[2:3]
	s_and_saveexec_b64 s[0:1], vcc
	s_cbranch_execz .LBB4_26
; %bb.1:
	s_load_dwordx8 s[24:31], s[4:5], 0x48
	s_load_dwordx16 s[8:23], s[4:5], 0x8
	s_waitcnt lgkmcnt(0)
	s_mul_i32 s1, s31, s7
	s_mul_hi_u32 s2, s30, s7
	s_mul_i32 s0, s30, s7
	s_add_i32 s1, s2, s1
	s_lshl_b64 s[0:1], s[0:1], 1
	s_mul_i32 s3, s15, s7
	s_add_u32 s0, s28, s0
	s_mul_hi_u32 s2, s14, s7
	s_addc_u32 s1, s29, s1
	s_add_i32 s3, s2, s3
	s_mul_i32 s2, s14, s7
	s_lshl_b64 s[2:3], s[2:3], 1
	s_add_u32 s4, s8, s2
	s_addc_u32 s5, s9, s3
	s_lshl_b64 s[2:3], s[10:11], 1
	s_add_u32 s6, s4, s2
	s_addc_u32 s8, s5, s3
	v_mad_u64_u32 v[0:1], s[2:3], s12, v2, 0
	s_mul_i32 s4, s27, s7
	s_mul_hi_u32 s2, s26, s7
	s_add_i32 s3, s2, s4
	v_mad_u64_u32 v[4:5], s[4:5], s13, v2, v[1:2]
	s_mul_i32 s2, s26, s7
	s_lshl_b64 s[2:3], s[2:3], 1
	v_mov_b32_e32 v1, v4
	v_lshlrev_b64 v[0:1], 1, v[0:1]
	v_mov_b32_e32 v4, s8
	v_add_co_u32_e32 v0, vcc, s6, v0
	s_add_u32 s2, s24, s2
	v_addc_co_u32_e32 v1, vcc, v4, v1, vcc
	s_addc_u32 s3, s25, s3
	global_load_ushort v4, v[0:1], off
	global_load_ushort v7, v3, s[2:3]
	global_load_ushort v6, v3, s[0:1]
	s_mov_b32 s0, 0x7f800000
	s_waitcnt vmcnt(2)
	v_lshlrev_b32_e32 v5, 16, v4
	s_waitcnt vmcnt(1)
	v_lshlrev_b32_e32 v7, 16, v7
	v_mul_f32_e32 v3, v7, v5
	v_and_b32_e32 v4, 0x7f800000, v3
	v_cmp_ne_u32_e32 vcc, s0, v4
                                        ; implicit-def: $vgpr4
	s_and_saveexec_b64 s[0:1], vcc
	s_xor_b64 s[0:1], exec, s[0:1]
; %bb.2:
	v_bfe_u32 v4, v3, 16, 1
	s_movk_i32 s2, 0x7fff
	v_add3_u32 v4, v3, v4, s2
                                        ; implicit-def: $vgpr3
; %bb.3:
	s_andn2_saveexec_b64 s[0:1], s[0:1]
; %bb.4:
	v_mov_b32_e32 v4, 0
	v_or_b32_e32 v8, 0x10000, v3
	v_cmp_eq_u32_sdwa vcc, v3, v4 src0_sel:WORD_0 src1_sel:DWORD
	v_cndmask_b32_e32 v4, v8, v3, vcc
; %bb.5:
	s_or_b64 exec, exec, s[0:1]
	v_mad_u64_u32 v[8:9], s[0:1], s20, v2, 0
	s_mul_i32 s2, s23, s7
	v_mov_b32_e32 v3, v9
	v_mad_u64_u32 v[2:3], s[0:1], s21, v2, v[3:4]
	s_mul_hi_u32 s1, s22, s7
	s_mul_i32 s0, s22, s7
	s_add_i32 s1, s1, s2
	s_lshl_b64 s[0:1], s[0:1], 1
	s_add_u32 s2, s16, s0
	v_mov_b32_e32 v9, v2
	s_addc_u32 s3, s17, s1
	s_lshl_b64 s[0:1], s[18:19], 1
	s_add_u32 s0, s2, s0
	v_lshlrev_b64 v[2:3], 1, v[8:9]
	s_addc_u32 s1, s3, s1
	v_mov_b32_e32 v8, s1
	v_add_co_u32_e32 v2, vcc, s0, v2
	v_addc_co_u32_e32 v3, vcc, v8, v3, vcc
	global_load_ushort v9, v[2:3], off
	s_waitcnt vmcnt(1)
	v_lshlrev_b32_e32 v8, 16, v6
	s_mov_b32 s0, 0x7f800000
	s_waitcnt vmcnt(0)
	v_lshlrev_b32_e32 v9, 16, v9
	v_mul_f32_e32 v10, v8, v9
	v_and_b32_e32 v6, 0x7f800000, v10
	v_cmp_ne_u32_e32 vcc, s0, v6
                                        ; implicit-def: $vgpr6
	s_and_saveexec_b64 s[0:1], vcc
	s_xor_b64 s[0:1], exec, s[0:1]
; %bb.6:
	v_bfe_u32 v6, v10, 16, 1
	s_movk_i32 s2, 0x7fff
	v_add3_u32 v6, v10, v6, s2
                                        ; implicit-def: $vgpr10
; %bb.7:
	s_andn2_saveexec_b64 s[0:1], s[0:1]
; %bb.8:
	v_mov_b32_e32 v6, 0
	v_or_b32_e32 v11, 0x10000, v10
	v_cmp_eq_u32_sdwa vcc, v10, v6 src0_sel:WORD_0 src1_sel:DWORD
	v_cndmask_b32_e32 v6, v11, v10, vcc
; %bb.9:
	s_or_b64 exec, exec, s[0:1]
	v_mul_f32_e32 v9, v7, v9
	s_mov_b32 s0, 0x7f800000
	v_and_b32_e32 v7, 0x7f800000, v9
	v_cmp_ne_u32_e32 vcc, s0, v7
                                        ; implicit-def: $vgpr7
	s_and_saveexec_b64 s[0:1], vcc
	s_xor_b64 s[0:1], exec, s[0:1]
; %bb.10:
	v_bfe_u32 v7, v9, 16, 1
	s_movk_i32 s2, 0x7fff
	v_add3_u32 v7, v9, v7, s2
                                        ; implicit-def: $vgpr9
; %bb.11:
	s_andn2_saveexec_b64 s[0:1], s[0:1]
; %bb.12:
	v_mov_b32_e32 v7, 0
	v_or_b32_e32 v10, 0x10000, v9
	v_cmp_eq_u32_sdwa vcc, v9, v7 src0_sel:WORD_0 src1_sel:DWORD
	v_cndmask_b32_e32 v7, v10, v9, vcc
; %bb.13:
	s_or_b64 exec, exec, s[0:1]
	v_mul_f32_e32 v5, v5, v8
	s_mov_b32 s0, 0x7f800000
	v_and_b32_e32 v8, 0x7f800000, v5
	v_cmp_ne_u32_e32 vcc, s0, v8
                                        ; implicit-def: $vgpr8
	s_and_saveexec_b64 s[0:1], vcc
	s_xor_b64 s[0:1], exec, s[0:1]
; %bb.14:
	v_bfe_u32 v8, v5, 16, 1
	s_movk_i32 s2, 0x7fff
	v_add3_u32 v8, v5, v8, s2
                                        ; implicit-def: $vgpr5
; %bb.15:
	s_andn2_saveexec_b64 s[0:1], s[0:1]
; %bb.16:
	v_mov_b32_e32 v8, 0
	v_or_b32_e32 v9, 0x10000, v5
	v_cmp_eq_u32_sdwa vcc, v5, v8 src0_sel:WORD_0 src1_sel:DWORD
	v_cndmask_b32_e32 v8, v9, v5, vcc
; %bb.17:
	s_or_b64 exec, exec, s[0:1]
	v_and_b32_e32 v5, 0xffff0000, v7
	v_and_b32_e32 v7, 0xffff0000, v8
	v_sub_f32_e32 v5, v5, v7
	s_mov_b32 s0, 0x7f800000
	v_and_b32_e32 v7, 0x7f800000, v5
	v_cmp_ne_u32_e32 vcc, s0, v7
                                        ; implicit-def: $vgpr7
	s_and_saveexec_b64 s[0:1], vcc
	s_xor_b64 s[0:1], exec, s[0:1]
; %bb.18:
	v_bfe_u32 v7, v5, 16, 1
	s_movk_i32 s2, 0x7fff
	v_add3_u32 v7, v5, v7, s2
                                        ; implicit-def: $vgpr5
; %bb.19:
	s_andn2_saveexec_b64 s[0:1], s[0:1]
; %bb.20:
	v_mov_b32_e32 v7, 0
	v_or_b32_e32 v8, 0x10000, v5
	v_cmp_eq_u32_sdwa vcc, v5, v7 src0_sel:WORD_0 src1_sel:DWORD
	v_cndmask_b32_e32 v7, v8, v5, vcc
; %bb.21:
	s_or_b64 exec, exec, s[0:1]
	v_and_b32_e32 v4, 0xffff0000, v4
	v_and_b32_e32 v5, 0xffff0000, v6
	v_add_f32_e32 v4, v4, v5
	global_store_short_d16_hi v[2:3], v7, off
	s_mov_b32 s0, 0x7f800000
	v_and_b32_e32 v2, 0x7f800000, v4
	v_cmp_ne_u32_e32 vcc, s0, v2
                                        ; implicit-def: $vgpr2
	s_and_saveexec_b64 s[0:1], vcc
	s_xor_b64 s[0:1], exec, s[0:1]
; %bb.22:
	v_bfe_u32 v2, v4, 16, 1
	s_movk_i32 s2, 0x7fff
	v_add3_u32 v2, v4, v2, s2
                                        ; implicit-def: $vgpr4
; %bb.23:
	s_andn2_saveexec_b64 s[0:1], s[0:1]
; %bb.24:
	v_mov_b32_e32 v2, 0
	v_or_b32_e32 v3, 0x10000, v4
	v_cmp_eq_u32_sdwa vcc, v4, v2 src0_sel:WORD_0 src1_sel:DWORD
	v_cndmask_b32_e32 v2, v3, v4, vcc
; %bb.25:
	s_or_b64 exec, exec, s[0:1]
	global_store_short_d16_hi v[0:1], v2, off
.LBB4_26:
	s_endpgm
	.section	.rodata,"a",@progbits
	.p2align	6, 0x0
	.amdhsa_kernel _ZL18rocblas_rot_kernelIiLi512EfP16rocblas_bfloat16S1_PKS0_S3_EviT2_lllT3_lllT4_lT5_li
		.amdhsa_group_segment_fixed_size 0
		.amdhsa_private_segment_fixed_size 0
		.amdhsa_kernarg_size 368
		.amdhsa_user_sgpr_count 6
		.amdhsa_user_sgpr_private_segment_buffer 1
		.amdhsa_user_sgpr_dispatch_ptr 0
		.amdhsa_user_sgpr_queue_ptr 0
		.amdhsa_user_sgpr_kernarg_segment_ptr 1
		.amdhsa_user_sgpr_dispatch_id 0
		.amdhsa_user_sgpr_flat_scratch_init 0
		.amdhsa_user_sgpr_private_segment_size 0
		.amdhsa_uses_dynamic_stack 0
		.amdhsa_system_sgpr_private_segment_wavefront_offset 0
		.amdhsa_system_sgpr_workgroup_id_x 1
		.amdhsa_system_sgpr_workgroup_id_y 0
		.amdhsa_system_sgpr_workgroup_id_z 1
		.amdhsa_system_sgpr_workgroup_info 0
		.amdhsa_system_vgpr_workitem_id 0
		.amdhsa_next_free_vgpr 12
		.amdhsa_next_free_sgpr 32
		.amdhsa_reserve_vcc 1
		.amdhsa_reserve_flat_scratch 0
		.amdhsa_float_round_mode_32 0
		.amdhsa_float_round_mode_16_64 0
		.amdhsa_float_denorm_mode_32 3
		.amdhsa_float_denorm_mode_16_64 3
		.amdhsa_dx10_clamp 1
		.amdhsa_ieee_mode 1
		.amdhsa_fp16_overflow 0
		.amdhsa_exception_fp_ieee_invalid_op 0
		.amdhsa_exception_fp_denorm_src 0
		.amdhsa_exception_fp_ieee_div_zero 0
		.amdhsa_exception_fp_ieee_overflow 0
		.amdhsa_exception_fp_ieee_underflow 0
		.amdhsa_exception_fp_ieee_inexact 0
		.amdhsa_exception_int_div_zero 0
	.end_amdhsa_kernel
	.section	.text._ZL18rocblas_rot_kernelIiLi512EfP16rocblas_bfloat16S1_PKS0_S3_EviT2_lllT3_lllT4_lT5_li,"axG",@progbits,_ZL18rocblas_rot_kernelIiLi512EfP16rocblas_bfloat16S1_PKS0_S3_EviT2_lllT3_lllT4_lT5_li,comdat
.Lfunc_end4:
	.size	_ZL18rocblas_rot_kernelIiLi512EfP16rocblas_bfloat16S1_PKS0_S3_EviT2_lllT3_lllT4_lT5_li, .Lfunc_end4-_ZL18rocblas_rot_kernelIiLi512EfP16rocblas_bfloat16S1_PKS0_S3_EviT2_lllT3_lllT4_lT5_li
                                        ; -- End function
	.set _ZL18rocblas_rot_kernelIiLi512EfP16rocblas_bfloat16S1_PKS0_S3_EviT2_lllT3_lllT4_lT5_li.num_vgpr, 12
	.set _ZL18rocblas_rot_kernelIiLi512EfP16rocblas_bfloat16S1_PKS0_S3_EviT2_lllT3_lllT4_lT5_li.num_agpr, 0
	.set _ZL18rocblas_rot_kernelIiLi512EfP16rocblas_bfloat16S1_PKS0_S3_EviT2_lllT3_lllT4_lT5_li.numbered_sgpr, 32
	.set _ZL18rocblas_rot_kernelIiLi512EfP16rocblas_bfloat16S1_PKS0_S3_EviT2_lllT3_lllT4_lT5_li.num_named_barrier, 0
	.set _ZL18rocblas_rot_kernelIiLi512EfP16rocblas_bfloat16S1_PKS0_S3_EviT2_lllT3_lllT4_lT5_li.private_seg_size, 0
	.set _ZL18rocblas_rot_kernelIiLi512EfP16rocblas_bfloat16S1_PKS0_S3_EviT2_lllT3_lllT4_lT5_li.uses_vcc, 1
	.set _ZL18rocblas_rot_kernelIiLi512EfP16rocblas_bfloat16S1_PKS0_S3_EviT2_lllT3_lllT4_lT5_li.uses_flat_scratch, 0
	.set _ZL18rocblas_rot_kernelIiLi512EfP16rocblas_bfloat16S1_PKS0_S3_EviT2_lllT3_lllT4_lT5_li.has_dyn_sized_stack, 0
	.set _ZL18rocblas_rot_kernelIiLi512EfP16rocblas_bfloat16S1_PKS0_S3_EviT2_lllT3_lllT4_lT5_li.has_recursion, 0
	.set _ZL18rocblas_rot_kernelIiLi512EfP16rocblas_bfloat16S1_PKS0_S3_EviT2_lllT3_lllT4_lT5_li.has_indirect_call, 0
	.section	.AMDGPU.csdata,"",@progbits
; Kernel info:
; codeLenInByte = 916
; TotalNumSgprs: 36
; NumVgprs: 12
; ScratchSize: 0
; MemoryBound: 0
; FloatMode: 240
; IeeeMode: 1
; LDSByteSize: 0 bytes/workgroup (compile time only)
; SGPRBlocks: 4
; VGPRBlocks: 2
; NumSGPRsForWavesPerEU: 36
; NumVGPRsForWavesPerEU: 12
; Occupancy: 10
; WaveLimiterHint : 0
; COMPUTE_PGM_RSRC2:SCRATCH_EN: 0
; COMPUTE_PGM_RSRC2:USER_SGPR: 6
; COMPUTE_PGM_RSRC2:TRAP_HANDLER: 0
; COMPUTE_PGM_RSRC2:TGID_X_EN: 1
; COMPUTE_PGM_RSRC2:TGID_Y_EN: 0
; COMPUTE_PGM_RSRC2:TGID_Z_EN: 1
; COMPUTE_PGM_RSRC2:TIDIG_COMP_CNT: 0
	.section	.text._ZL18rocblas_rot_kernelIiLi512EfP16rocblas_bfloat16S1_S0_S0_EviT2_lllT3_lllT4_lT5_li,"axG",@progbits,_ZL18rocblas_rot_kernelIiLi512EfP16rocblas_bfloat16S1_S0_S0_EviT2_lllT3_lllT4_lT5_li,comdat
	.globl	_ZL18rocblas_rot_kernelIiLi512EfP16rocblas_bfloat16S1_S0_S0_EviT2_lllT3_lllT4_lT5_li ; -- Begin function _ZL18rocblas_rot_kernelIiLi512EfP16rocblas_bfloat16S1_S0_S0_EviT2_lllT3_lllT4_lT5_li
	.p2align	8
	.type	_ZL18rocblas_rot_kernelIiLi512EfP16rocblas_bfloat16S1_S0_S0_EviT2_lllT3_lllT4_lT5_li,@function
_ZL18rocblas_rot_kernelIiLi512EfP16rocblas_bfloat16S1_S0_S0_EviT2_lllT3_lllT4_lT5_li: ; @_ZL18rocblas_rot_kernelIiLi512EfP16rocblas_bfloat16S1_S0_S0_EviT2_lllT3_lllT4_lT5_li
; %bb.0:
	s_load_dword s0, s[4:5], 0x0
	s_load_dword s2, s[4:5], 0x7c
	v_mov_b32_e32 v3, 0
	s_waitcnt lgkmcnt(0)
	s_ashr_i32 s1, s0, 31
	s_and_b32 s2, s2, 0xffff
	s_mul_i32 s6, s6, s2
	v_add_u32_e32 v2, s6, v0
	v_cmp_gt_i64_e32 vcc, s[0:1], v[2:3]
	s_and_saveexec_b64 s[0:1], vcc
	s_cbranch_execz .LBB5_26
; %bb.1:
	s_load_dwordx16 s[8:23], s[4:5], 0x8
	s_waitcnt lgkmcnt(0)
	s_mul_i32 s1, s15, s7
	s_mul_hi_u32 s6, s14, s7
	v_mad_u64_u32 v[0:1], s[2:3], s12, v2, 0
	s_mul_i32 s0, s14, s7
	s_add_i32 s1, s6, s1
	s_lshl_b64 s[0:1], s[0:1], 1
	s_add_u32 s2, s8, s0
	s_addc_u32 s3, s9, s1
	v_mad_u64_u32 v[3:4], s[0:1], s13, v2, v[1:2]
	s_lshl_b64 s[0:1], s[10:11], 1
	s_add_u32 s0, s2, s0
	v_mov_b32_e32 v1, v3
	v_lshlrev_b64 v[0:1], 1, v[0:1]
	s_addc_u32 s1, s3, s1
	v_mov_b32_e32 v3, s1
	v_add_co_u32_e32 v0, vcc, s0, v0
	v_addc_co_u32_e32 v1, vcc, v3, v1, vcc
	global_load_ushort v3, v[0:1], off
	s_load_dword s0, s[4:5], 0x48
	s_waitcnt lgkmcnt(0)
	s_lshl_b32 s2, s0, 16
	s_mov_b32 s0, 0x7f800000
	s_waitcnt vmcnt(0)
	v_lshlrev_b32_e32 v5, 16, v3
	v_mul_f32_e32 v3, s2, v5
	v_and_b32_e32 v4, 0x7f800000, v3
	v_cmp_ne_u32_e32 vcc, s0, v4
                                        ; implicit-def: $vgpr4
	s_and_saveexec_b64 s[0:1], vcc
	s_xor_b64 s[0:1], exec, s[0:1]
; %bb.2:
	v_bfe_u32 v4, v3, 16, 1
	s_movk_i32 s3, 0x7fff
	v_add3_u32 v4, v3, v4, s3
                                        ; implicit-def: $vgpr3
; %bb.3:
	s_andn2_saveexec_b64 s[0:1], s[0:1]
; %bb.4:
	v_mov_b32_e32 v4, 0
	v_or_b32_e32 v6, 0x10000, v3
	v_cmp_eq_u32_sdwa vcc, v3, v4 src0_sel:WORD_0 src1_sel:DWORD
	v_cndmask_b32_e32 v4, v6, v3, vcc
; %bb.5:
	s_or_b64 exec, exec, s[0:1]
	v_mad_u64_u32 v[6:7], s[0:1], s20, v2, 0
	s_mul_i32 s3, s23, s7
	v_mov_b32_e32 v3, v7
	v_mad_u64_u32 v[2:3], s[0:1], s21, v2, v[3:4]
	s_mul_hi_u32 s1, s22, s7
	s_mul_i32 s0, s22, s7
	s_add_i32 s1, s1, s3
	s_lshl_b64 s[0:1], s[0:1], 1
	s_add_u32 s3, s16, s0
	v_mov_b32_e32 v7, v2
	s_addc_u32 s6, s17, s1
	s_lshl_b64 s[0:1], s[18:19], 1
	s_add_u32 s0, s3, s0
	v_lshlrev_b64 v[2:3], 1, v[6:7]
	s_addc_u32 s1, s6, s1
	v_mov_b32_e32 v6, s1
	v_add_co_u32_e32 v2, vcc, s0, v2
	v_addc_co_u32_e32 v3, vcc, v6, v3, vcc
	global_load_ushort v6, v[2:3], off
	s_load_dword s0, s[4:5], 0x58
	s_waitcnt lgkmcnt(0)
	s_lshl_b32 s3, s0, 16
	s_mov_b32 s0, 0x7f800000
	s_waitcnt vmcnt(0)
	v_lshlrev_b32_e32 v7, 16, v6
	v_mul_f32_e32 v8, s3, v7
	v_and_b32_e32 v6, 0x7f800000, v8
	v_cmp_ne_u32_e32 vcc, s0, v6
                                        ; implicit-def: $vgpr6
	s_and_saveexec_b64 s[0:1], vcc
	s_xor_b64 s[0:1], exec, s[0:1]
; %bb.6:
	v_bfe_u32 v6, v8, 16, 1
	s_movk_i32 s4, 0x7fff
	v_add3_u32 v6, v8, v6, s4
                                        ; implicit-def: $vgpr8
; %bb.7:
	s_andn2_saveexec_b64 s[0:1], s[0:1]
; %bb.8:
	v_mov_b32_e32 v6, 0
	v_or_b32_e32 v9, 0x10000, v8
	v_cmp_eq_u32_sdwa vcc, v8, v6 src0_sel:WORD_0 src1_sel:DWORD
	v_cndmask_b32_e32 v6, v9, v8, vcc
; %bb.9:
	s_or_b64 exec, exec, s[0:1]
	v_mul_f32_e32 v8, s2, v7
	s_mov_b32 s0, 0x7f800000
	v_and_b32_e32 v7, 0x7f800000, v8
	v_cmp_ne_u32_e32 vcc, s0, v7
                                        ; implicit-def: $vgpr7
	s_and_saveexec_b64 s[0:1], vcc
	s_xor_b64 s[0:1], exec, s[0:1]
; %bb.10:
	v_bfe_u32 v7, v8, 16, 1
	s_movk_i32 s2, 0x7fff
	v_add3_u32 v7, v8, v7, s2
                                        ; implicit-def: $vgpr8
; %bb.11:
	s_andn2_saveexec_b64 s[0:1], s[0:1]
; %bb.12:
	v_mov_b32_e32 v7, 0
	v_or_b32_e32 v9, 0x10000, v8
	v_cmp_eq_u32_sdwa vcc, v8, v7 src0_sel:WORD_0 src1_sel:DWORD
	v_cndmask_b32_e32 v7, v9, v8, vcc
; %bb.13:
	s_or_b64 exec, exec, s[0:1]
	v_mul_f32_e32 v5, s3, v5
	s_mov_b32 s0, 0x7f800000
	v_and_b32_e32 v8, 0x7f800000, v5
	v_cmp_ne_u32_e32 vcc, s0, v8
                                        ; implicit-def: $vgpr8
	s_and_saveexec_b64 s[0:1], vcc
	s_xor_b64 s[0:1], exec, s[0:1]
; %bb.14:
	v_bfe_u32 v8, v5, 16, 1
	s_movk_i32 s2, 0x7fff
	v_add3_u32 v8, v5, v8, s2
                                        ; implicit-def: $vgpr5
; %bb.15:
	s_andn2_saveexec_b64 s[0:1], s[0:1]
; %bb.16:
	v_mov_b32_e32 v8, 0
	v_or_b32_e32 v9, 0x10000, v5
	v_cmp_eq_u32_sdwa vcc, v5, v8 src0_sel:WORD_0 src1_sel:DWORD
	v_cndmask_b32_e32 v8, v9, v5, vcc
; %bb.17:
	s_or_b64 exec, exec, s[0:1]
	v_and_b32_e32 v5, 0xffff0000, v7
	v_and_b32_e32 v7, 0xffff0000, v8
	v_sub_f32_e32 v5, v5, v7
	s_mov_b32 s0, 0x7f800000
	v_and_b32_e32 v7, 0x7f800000, v5
	v_cmp_ne_u32_e32 vcc, s0, v7
                                        ; implicit-def: $vgpr7
	s_and_saveexec_b64 s[0:1], vcc
	s_xor_b64 s[0:1], exec, s[0:1]
; %bb.18:
	v_bfe_u32 v7, v5, 16, 1
	s_movk_i32 s2, 0x7fff
	v_add3_u32 v7, v5, v7, s2
                                        ; implicit-def: $vgpr5
; %bb.19:
	s_andn2_saveexec_b64 s[0:1], s[0:1]
; %bb.20:
	v_mov_b32_e32 v7, 0
	v_or_b32_e32 v8, 0x10000, v5
	v_cmp_eq_u32_sdwa vcc, v5, v7 src0_sel:WORD_0 src1_sel:DWORD
	v_cndmask_b32_e32 v7, v8, v5, vcc
; %bb.21:
	s_or_b64 exec, exec, s[0:1]
	v_and_b32_e32 v4, 0xffff0000, v4
	v_and_b32_e32 v5, 0xffff0000, v6
	v_add_f32_e32 v4, v4, v5
	global_store_short_d16_hi v[2:3], v7, off
	s_mov_b32 s0, 0x7f800000
	v_and_b32_e32 v2, 0x7f800000, v4
	v_cmp_ne_u32_e32 vcc, s0, v2
                                        ; implicit-def: $vgpr2
	s_and_saveexec_b64 s[0:1], vcc
	s_xor_b64 s[0:1], exec, s[0:1]
; %bb.22:
	v_bfe_u32 v2, v4, 16, 1
	s_movk_i32 s2, 0x7fff
	v_add3_u32 v2, v4, v2, s2
                                        ; implicit-def: $vgpr4
; %bb.23:
	s_andn2_saveexec_b64 s[0:1], s[0:1]
; %bb.24:
	v_mov_b32_e32 v2, 0
	v_or_b32_e32 v3, 0x10000, v4
	v_cmp_eq_u32_sdwa vcc, v4, v2 src0_sel:WORD_0 src1_sel:DWORD
	v_cndmask_b32_e32 v2, v3, v4, vcc
; %bb.25:
	s_or_b64 exec, exec, s[0:1]
	global_store_short_d16_hi v[0:1], v2, off
.LBB5_26:
	s_endpgm
	.section	.rodata,"a",@progbits
	.p2align	6, 0x0
	.amdhsa_kernel _ZL18rocblas_rot_kernelIiLi512EfP16rocblas_bfloat16S1_S0_S0_EviT2_lllT3_lllT4_lT5_li
		.amdhsa_group_segment_fixed_size 0
		.amdhsa_private_segment_fixed_size 0
		.amdhsa_kernarg_size 368
		.amdhsa_user_sgpr_count 6
		.amdhsa_user_sgpr_private_segment_buffer 1
		.amdhsa_user_sgpr_dispatch_ptr 0
		.amdhsa_user_sgpr_queue_ptr 0
		.amdhsa_user_sgpr_kernarg_segment_ptr 1
		.amdhsa_user_sgpr_dispatch_id 0
		.amdhsa_user_sgpr_flat_scratch_init 0
		.amdhsa_user_sgpr_private_segment_size 0
		.amdhsa_uses_dynamic_stack 0
		.amdhsa_system_sgpr_private_segment_wavefront_offset 0
		.amdhsa_system_sgpr_workgroup_id_x 1
		.amdhsa_system_sgpr_workgroup_id_y 0
		.amdhsa_system_sgpr_workgroup_id_z 1
		.amdhsa_system_sgpr_workgroup_info 0
		.amdhsa_system_vgpr_workitem_id 0
		.amdhsa_next_free_vgpr 10
		.amdhsa_next_free_sgpr 24
		.amdhsa_reserve_vcc 1
		.amdhsa_reserve_flat_scratch 0
		.amdhsa_float_round_mode_32 0
		.amdhsa_float_round_mode_16_64 0
		.amdhsa_float_denorm_mode_32 3
		.amdhsa_float_denorm_mode_16_64 3
		.amdhsa_dx10_clamp 1
		.amdhsa_ieee_mode 1
		.amdhsa_fp16_overflow 0
		.amdhsa_exception_fp_ieee_invalid_op 0
		.amdhsa_exception_fp_denorm_src 0
		.amdhsa_exception_fp_ieee_div_zero 0
		.amdhsa_exception_fp_ieee_overflow 0
		.amdhsa_exception_fp_ieee_underflow 0
		.amdhsa_exception_fp_ieee_inexact 0
		.amdhsa_exception_int_div_zero 0
	.end_amdhsa_kernel
	.section	.text._ZL18rocblas_rot_kernelIiLi512EfP16rocblas_bfloat16S1_S0_S0_EviT2_lllT3_lllT4_lT5_li,"axG",@progbits,_ZL18rocblas_rot_kernelIiLi512EfP16rocblas_bfloat16S1_S0_S0_EviT2_lllT3_lllT4_lT5_li,comdat
.Lfunc_end5:
	.size	_ZL18rocblas_rot_kernelIiLi512EfP16rocblas_bfloat16S1_S0_S0_EviT2_lllT3_lllT4_lT5_li, .Lfunc_end5-_ZL18rocblas_rot_kernelIiLi512EfP16rocblas_bfloat16S1_S0_S0_EviT2_lllT3_lllT4_lT5_li
                                        ; -- End function
	.set _ZL18rocblas_rot_kernelIiLi512EfP16rocblas_bfloat16S1_S0_S0_EviT2_lllT3_lllT4_lT5_li.num_vgpr, 10
	.set _ZL18rocblas_rot_kernelIiLi512EfP16rocblas_bfloat16S1_S0_S0_EviT2_lllT3_lllT4_lT5_li.num_agpr, 0
	.set _ZL18rocblas_rot_kernelIiLi512EfP16rocblas_bfloat16S1_S0_S0_EviT2_lllT3_lllT4_lT5_li.numbered_sgpr, 24
	.set _ZL18rocblas_rot_kernelIiLi512EfP16rocblas_bfloat16S1_S0_S0_EviT2_lllT3_lllT4_lT5_li.num_named_barrier, 0
	.set _ZL18rocblas_rot_kernelIiLi512EfP16rocblas_bfloat16S1_S0_S0_EviT2_lllT3_lllT4_lT5_li.private_seg_size, 0
	.set _ZL18rocblas_rot_kernelIiLi512EfP16rocblas_bfloat16S1_S0_S0_EviT2_lllT3_lllT4_lT5_li.uses_vcc, 1
	.set _ZL18rocblas_rot_kernelIiLi512EfP16rocblas_bfloat16S1_S0_S0_EviT2_lllT3_lllT4_lT5_li.uses_flat_scratch, 0
	.set _ZL18rocblas_rot_kernelIiLi512EfP16rocblas_bfloat16S1_S0_S0_EviT2_lllT3_lllT4_lT5_li.has_dyn_sized_stack, 0
	.set _ZL18rocblas_rot_kernelIiLi512EfP16rocblas_bfloat16S1_S0_S0_EviT2_lllT3_lllT4_lT5_li.has_recursion, 0
	.set _ZL18rocblas_rot_kernelIiLi512EfP16rocblas_bfloat16S1_S0_S0_EviT2_lllT3_lllT4_lT5_li.has_indirect_call, 0
	.section	.AMDGPU.csdata,"",@progbits
; Kernel info:
; codeLenInByte = 852
; TotalNumSgprs: 28
; NumVgprs: 10
; ScratchSize: 0
; MemoryBound: 0
; FloatMode: 240
; IeeeMode: 1
; LDSByteSize: 0 bytes/workgroup (compile time only)
; SGPRBlocks: 3
; VGPRBlocks: 2
; NumSGPRsForWavesPerEU: 28
; NumVGPRsForWavesPerEU: 10
; Occupancy: 10
; WaveLimiterHint : 0
; COMPUTE_PGM_RSRC2:SCRATCH_EN: 0
; COMPUTE_PGM_RSRC2:USER_SGPR: 6
; COMPUTE_PGM_RSRC2:TRAP_HANDLER: 0
; COMPUTE_PGM_RSRC2:TGID_X_EN: 1
; COMPUTE_PGM_RSRC2:TGID_Y_EN: 0
; COMPUTE_PGM_RSRC2:TGID_Z_EN: 1
; COMPUTE_PGM_RSRC2:TIDIG_COMP_CNT: 0
	.section	.text._ZL18rocblas_rot_kernelIiLi512EfPDF16_S0_PKDF16_S2_EviT2_lllT3_lllT4_lT5_li,"axG",@progbits,_ZL18rocblas_rot_kernelIiLi512EfPDF16_S0_PKDF16_S2_EviT2_lllT3_lllT4_lT5_li,comdat
	.globl	_ZL18rocblas_rot_kernelIiLi512EfPDF16_S0_PKDF16_S2_EviT2_lllT3_lllT4_lT5_li ; -- Begin function _ZL18rocblas_rot_kernelIiLi512EfPDF16_S0_PKDF16_S2_EviT2_lllT3_lllT4_lT5_li
	.p2align	8
	.type	_ZL18rocblas_rot_kernelIiLi512EfPDF16_S0_PKDF16_S2_EviT2_lllT3_lllT4_lT5_li,@function
_ZL18rocblas_rot_kernelIiLi512EfPDF16_S0_PKDF16_S2_EviT2_lllT3_lllT4_lT5_li: ; @_ZL18rocblas_rot_kernelIiLi512EfPDF16_S0_PKDF16_S2_EviT2_lllT3_lllT4_lT5_li
; %bb.0:
	s_load_dword s0, s[4:5], 0x0
	s_load_dword s2, s[4:5], 0x7c
	v_mov_b32_e32 v1, 0
	s_waitcnt lgkmcnt(0)
	s_ashr_i32 s1, s0, 31
	s_and_b32 s2, s2, 0xffff
	s_mul_i32 s6, s6, s2
	v_add_u32_e32 v0, s6, v0
	v_cmp_gt_i64_e32 vcc, s[0:1], v[0:1]
	s_and_saveexec_b64 s[0:1], vcc
	s_cbranch_execz .LBB6_2
; %bb.1:
	s_load_dwordx16 s[8:23], s[4:5], 0x8
	s_load_dwordx8 s[24:31], s[4:5], 0x48
	s_waitcnt lgkmcnt(0)
	s_mul_i32 s1, s23, s7
	s_mul_hi_u32 s2, s22, s7
	s_mul_i32 s0, s22, s7
	s_add_i32 s1, s2, s1
	s_lshl_b64 s[0:1], s[0:1], 1
	s_add_u32 s2, s16, s0
	s_addc_u32 s3, s17, s1
	s_lshl_b64 s[0:1], s[18:19], 1
	s_add_u32 s4, s2, s0
	s_addc_u32 s5, s3, s1
	s_mul_i32 s0, s15, s7
	s_mul_hi_u32 s1, s14, s7
	s_add_i32 s1, s1, s0
	s_mul_i32 s0, s14, s7
	s_lshl_b64 s[0:1], s[0:1], 1
	s_add_u32 s2, s8, s0
	s_addc_u32 s3, s9, s1
	s_lshl_b64 s[0:1], s[10:11], 1
	s_add_u32 s6, s2, s0
	s_addc_u32 s8, s3, s1
	v_mad_u64_u32 v[2:3], s[2:3], s12, v0, 0
	v_mad_u64_u32 v[4:5], s[2:3], s20, v0, 0
	s_mul_i32 s0, s31, s7
	s_mul_hi_u32 s1, s30, s7
	v_mad_u64_u32 v[6:7], s[2:3], s13, v0, v[3:4]
	v_mov_b32_e32 v3, v5
	v_mad_u64_u32 v[7:8], s[2:3], s21, v0, v[3:4]
	s_add_i32 s1, s1, s0
	s_mul_i32 s0, s30, s7
	s_lshl_b64 s[0:1], s[0:1], 1
	v_mov_b32_e32 v3, v6
	s_add_u32 s0, s28, s0
	v_lshlrev_b64 v[2:3], 1, v[2:3]
	s_addc_u32 s1, s29, s1
	v_mov_b32_e32 v5, v7
	global_load_ushort v9, v1, s[0:1]
	s_mul_i32 s0, s27, s7
	s_mul_hi_u32 s1, s26, s7
	v_mov_b32_e32 v0, s8
	v_add_co_u32_e32 v2, vcc, s6, v2
	v_lshlrev_b64 v[4:5], 1, v[4:5]
	s_add_i32 s1, s1, s0
	s_mul_i32 s0, s26, s7
	v_addc_co_u32_e32 v3, vcc, v0, v3, vcc
	s_lshl_b64 s[0:1], s[0:1], 1
	v_mov_b32_e32 v0, s5
	v_add_co_u32_e32 v4, vcc, s4, v4
	s_add_u32 s0, s24, s0
	v_addc_co_u32_e32 v5, vcc, v0, v5, vcc
	s_addc_u32 s1, s25, s1
	global_load_ushort v0, v[4:5], off
	global_load_ushort v6, v[2:3], off
	global_load_ushort v7, v1, s[0:1]
	s_waitcnt vmcnt(2)
	v_mul_f16_e32 v1, v9, v0
	s_waitcnt vmcnt(1)
	v_mul_f16_e32 v8, v9, v6
	s_waitcnt vmcnt(0)
	v_fma_f16 v0, v7, v0, -v8
	v_fma_f16 v1, v7, v6, v1
	global_store_short v[4:5], v0, off
	global_store_short v[2:3], v1, off
.LBB6_2:
	s_endpgm
	.section	.rodata,"a",@progbits
	.p2align	6, 0x0
	.amdhsa_kernel _ZL18rocblas_rot_kernelIiLi512EfPDF16_S0_PKDF16_S2_EviT2_lllT3_lllT4_lT5_li
		.amdhsa_group_segment_fixed_size 0
		.amdhsa_private_segment_fixed_size 0
		.amdhsa_kernarg_size 368
		.amdhsa_user_sgpr_count 6
		.amdhsa_user_sgpr_private_segment_buffer 1
		.amdhsa_user_sgpr_dispatch_ptr 0
		.amdhsa_user_sgpr_queue_ptr 0
		.amdhsa_user_sgpr_kernarg_segment_ptr 1
		.amdhsa_user_sgpr_dispatch_id 0
		.amdhsa_user_sgpr_flat_scratch_init 0
		.amdhsa_user_sgpr_private_segment_size 0
		.amdhsa_uses_dynamic_stack 0
		.amdhsa_system_sgpr_private_segment_wavefront_offset 0
		.amdhsa_system_sgpr_workgroup_id_x 1
		.amdhsa_system_sgpr_workgroup_id_y 0
		.amdhsa_system_sgpr_workgroup_id_z 1
		.amdhsa_system_sgpr_workgroup_info 0
		.amdhsa_system_vgpr_workitem_id 0
		.amdhsa_next_free_vgpr 10
		.amdhsa_next_free_sgpr 32
		.amdhsa_reserve_vcc 1
		.amdhsa_reserve_flat_scratch 0
		.amdhsa_float_round_mode_32 0
		.amdhsa_float_round_mode_16_64 0
		.amdhsa_float_denorm_mode_32 3
		.amdhsa_float_denorm_mode_16_64 3
		.amdhsa_dx10_clamp 1
		.amdhsa_ieee_mode 1
		.amdhsa_fp16_overflow 0
		.amdhsa_exception_fp_ieee_invalid_op 0
		.amdhsa_exception_fp_denorm_src 0
		.amdhsa_exception_fp_ieee_div_zero 0
		.amdhsa_exception_fp_ieee_overflow 0
		.amdhsa_exception_fp_ieee_underflow 0
		.amdhsa_exception_fp_ieee_inexact 0
		.amdhsa_exception_int_div_zero 0
	.end_amdhsa_kernel
	.section	.text._ZL18rocblas_rot_kernelIiLi512EfPDF16_S0_PKDF16_S2_EviT2_lllT3_lllT4_lT5_li,"axG",@progbits,_ZL18rocblas_rot_kernelIiLi512EfPDF16_S0_PKDF16_S2_EviT2_lllT3_lllT4_lT5_li,comdat
.Lfunc_end6:
	.size	_ZL18rocblas_rot_kernelIiLi512EfPDF16_S0_PKDF16_S2_EviT2_lllT3_lllT4_lT5_li, .Lfunc_end6-_ZL18rocblas_rot_kernelIiLi512EfPDF16_S0_PKDF16_S2_EviT2_lllT3_lllT4_lT5_li
                                        ; -- End function
	.set _ZL18rocblas_rot_kernelIiLi512EfPDF16_S0_PKDF16_S2_EviT2_lllT3_lllT4_lT5_li.num_vgpr, 10
	.set _ZL18rocblas_rot_kernelIiLi512EfPDF16_S0_PKDF16_S2_EviT2_lllT3_lllT4_lT5_li.num_agpr, 0
	.set _ZL18rocblas_rot_kernelIiLi512EfPDF16_S0_PKDF16_S2_EviT2_lllT3_lllT4_lT5_li.numbered_sgpr, 32
	.set _ZL18rocblas_rot_kernelIiLi512EfPDF16_S0_PKDF16_S2_EviT2_lllT3_lllT4_lT5_li.num_named_barrier, 0
	.set _ZL18rocblas_rot_kernelIiLi512EfPDF16_S0_PKDF16_S2_EviT2_lllT3_lllT4_lT5_li.private_seg_size, 0
	.set _ZL18rocblas_rot_kernelIiLi512EfPDF16_S0_PKDF16_S2_EviT2_lllT3_lllT4_lT5_li.uses_vcc, 1
	.set _ZL18rocblas_rot_kernelIiLi512EfPDF16_S0_PKDF16_S2_EviT2_lllT3_lllT4_lT5_li.uses_flat_scratch, 0
	.set _ZL18rocblas_rot_kernelIiLi512EfPDF16_S0_PKDF16_S2_EviT2_lllT3_lllT4_lT5_li.has_dyn_sized_stack, 0
	.set _ZL18rocblas_rot_kernelIiLi512EfPDF16_S0_PKDF16_S2_EviT2_lllT3_lllT4_lT5_li.has_recursion, 0
	.set _ZL18rocblas_rot_kernelIiLi512EfPDF16_S0_PKDF16_S2_EviT2_lllT3_lllT4_lT5_li.has_indirect_call, 0
	.section	.AMDGPU.csdata,"",@progbits
; Kernel info:
; codeLenInByte = 384
; TotalNumSgprs: 36
; NumVgprs: 10
; ScratchSize: 0
; MemoryBound: 0
; FloatMode: 240
; IeeeMode: 1
; LDSByteSize: 0 bytes/workgroup (compile time only)
; SGPRBlocks: 4
; VGPRBlocks: 2
; NumSGPRsForWavesPerEU: 36
; NumVGPRsForWavesPerEU: 10
; Occupancy: 10
; WaveLimiterHint : 0
; COMPUTE_PGM_RSRC2:SCRATCH_EN: 0
; COMPUTE_PGM_RSRC2:USER_SGPR: 6
; COMPUTE_PGM_RSRC2:TRAP_HANDLER: 0
; COMPUTE_PGM_RSRC2:TGID_X_EN: 1
; COMPUTE_PGM_RSRC2:TGID_Y_EN: 0
; COMPUTE_PGM_RSRC2:TGID_Z_EN: 1
; COMPUTE_PGM_RSRC2:TIDIG_COMP_CNT: 0
	.section	.text._ZL18rocblas_rot_kernelIiLi512EfPDF16_S0_DF16_DF16_EviT2_lllT3_lllT4_lT5_li,"axG",@progbits,_ZL18rocblas_rot_kernelIiLi512EfPDF16_S0_DF16_DF16_EviT2_lllT3_lllT4_lT5_li,comdat
	.globl	_ZL18rocblas_rot_kernelIiLi512EfPDF16_S0_DF16_DF16_EviT2_lllT3_lllT4_lT5_li ; -- Begin function _ZL18rocblas_rot_kernelIiLi512EfPDF16_S0_DF16_DF16_EviT2_lllT3_lllT4_lT5_li
	.p2align	8
	.type	_ZL18rocblas_rot_kernelIiLi512EfPDF16_S0_DF16_DF16_EviT2_lllT3_lllT4_lT5_li,@function
_ZL18rocblas_rot_kernelIiLi512EfPDF16_S0_DF16_DF16_EviT2_lllT3_lllT4_lT5_li: ; @_ZL18rocblas_rot_kernelIiLi512EfPDF16_S0_DF16_DF16_EviT2_lllT3_lllT4_lT5_li
; %bb.0:
	s_load_dword s0, s[4:5], 0x0
	s_load_dword s2, s[4:5], 0x7c
	v_mov_b32_e32 v1, 0
	s_waitcnt lgkmcnt(0)
	s_ashr_i32 s1, s0, 31
	s_and_b32 s2, s2, 0xffff
	s_mul_i32 s6, s6, s2
	v_add_u32_e32 v0, s6, v0
	v_cmp_gt_i64_e32 vcc, s[0:1], v[0:1]
	s_and_saveexec_b64 s[0:1], vcc
	s_cbranch_execz .LBB7_2
; %bb.1:
	s_load_dwordx16 s[8:23], s[4:5], 0x8
	s_waitcnt lgkmcnt(0)
	s_mul_i32 s1, s23, s7
	s_mul_hi_u32 s2, s22, s7
	s_mul_i32 s0, s22, s7
	s_add_i32 s1, s2, s1
	s_lshl_b64 s[0:1], s[0:1], 1
	s_add_u32 s2, s16, s0
	s_addc_u32 s6, s17, s1
	s_lshl_b64 s[0:1], s[18:19], 1
	s_mul_i32 s3, s15, s7
	s_add_u32 s15, s2, s0
	s_mul_hi_u32 s0, s14, s7
	s_addc_u32 s6, s6, s1
	s_add_i32 s1, s0, s3
	s_mul_i32 s0, s14, s7
	s_lshl_b64 s[0:1], s[0:1], 1
	s_add_u32 s7, s8, s0
	s_addc_u32 s8, s9, s1
	v_mad_u64_u32 v[1:2], s[0:1], s12, v0, 0
	v_mad_u64_u32 v[3:4], s[2:3], s20, v0, 0
	s_lshl_b64 s[0:1], s[10:11], 1
	s_add_u32 s0, s7, s0
	v_mad_u64_u32 v[5:6], s[2:3], s13, v0, v[2:3]
	v_mov_b32_e32 v2, v4
	v_mad_u64_u32 v[6:7], s[2:3], s21, v0, v[2:3]
	v_mov_b32_e32 v2, v5
	v_lshlrev_b64 v[0:1], 1, v[1:2]
	s_addc_u32 s1, s8, s1
	v_mov_b32_e32 v4, v6
	v_mov_b32_e32 v2, s1
	v_add_co_u32_e32 v0, vcc, s0, v0
	v_addc_co_u32_e32 v1, vcc, v2, v1, vcc
	v_lshlrev_b64 v[2:3], 1, v[3:4]
	v_mov_b32_e32 v4, s6
	v_add_co_u32_e32 v2, vcc, s15, v2
	v_addc_co_u32_e32 v3, vcc, v4, v3, vcc
	global_load_ushort v4, v[2:3], off
	global_load_ushort v5, v[0:1], off
	s_load_dword s0, s[4:5], 0x58
	s_load_dword s1, s[4:5], 0x48
	s_waitcnt vmcnt(1) lgkmcnt(0)
	v_mul_f16_e32 v6, s0, v4
	s_waitcnt vmcnt(0)
	v_mul_f16_e32 v7, s0, v5
	v_fma_f16 v4, s1, v4, -v7
	v_fma_f16 v5, s1, v5, v6
	global_store_short v[2:3], v4, off
	global_store_short v[0:1], v5, off
.LBB7_2:
	s_endpgm
	.section	.rodata,"a",@progbits
	.p2align	6, 0x0
	.amdhsa_kernel _ZL18rocblas_rot_kernelIiLi512EfPDF16_S0_DF16_DF16_EviT2_lllT3_lllT4_lT5_li
		.amdhsa_group_segment_fixed_size 0
		.amdhsa_private_segment_fixed_size 0
		.amdhsa_kernarg_size 368
		.amdhsa_user_sgpr_count 6
		.amdhsa_user_sgpr_private_segment_buffer 1
		.amdhsa_user_sgpr_dispatch_ptr 0
		.amdhsa_user_sgpr_queue_ptr 0
		.amdhsa_user_sgpr_kernarg_segment_ptr 1
		.amdhsa_user_sgpr_dispatch_id 0
		.amdhsa_user_sgpr_flat_scratch_init 0
		.amdhsa_user_sgpr_private_segment_size 0
		.amdhsa_uses_dynamic_stack 0
		.amdhsa_system_sgpr_private_segment_wavefront_offset 0
		.amdhsa_system_sgpr_workgroup_id_x 1
		.amdhsa_system_sgpr_workgroup_id_y 0
		.amdhsa_system_sgpr_workgroup_id_z 1
		.amdhsa_system_sgpr_workgroup_info 0
		.amdhsa_system_vgpr_workitem_id 0
		.amdhsa_next_free_vgpr 8
		.amdhsa_next_free_sgpr 24
		.amdhsa_reserve_vcc 1
		.amdhsa_reserve_flat_scratch 0
		.amdhsa_float_round_mode_32 0
		.amdhsa_float_round_mode_16_64 0
		.amdhsa_float_denorm_mode_32 3
		.amdhsa_float_denorm_mode_16_64 3
		.amdhsa_dx10_clamp 1
		.amdhsa_ieee_mode 1
		.amdhsa_fp16_overflow 0
		.amdhsa_exception_fp_ieee_invalid_op 0
		.amdhsa_exception_fp_denorm_src 0
		.amdhsa_exception_fp_ieee_div_zero 0
		.amdhsa_exception_fp_ieee_overflow 0
		.amdhsa_exception_fp_ieee_underflow 0
		.amdhsa_exception_fp_ieee_inexact 0
		.amdhsa_exception_int_div_zero 0
	.end_amdhsa_kernel
	.section	.text._ZL18rocblas_rot_kernelIiLi512EfPDF16_S0_DF16_DF16_EviT2_lllT3_lllT4_lT5_li,"axG",@progbits,_ZL18rocblas_rot_kernelIiLi512EfPDF16_S0_DF16_DF16_EviT2_lllT3_lllT4_lT5_li,comdat
.Lfunc_end7:
	.size	_ZL18rocblas_rot_kernelIiLi512EfPDF16_S0_DF16_DF16_EviT2_lllT3_lllT4_lT5_li, .Lfunc_end7-_ZL18rocblas_rot_kernelIiLi512EfPDF16_S0_DF16_DF16_EviT2_lllT3_lllT4_lT5_li
                                        ; -- End function
	.set _ZL18rocblas_rot_kernelIiLi512EfPDF16_S0_DF16_DF16_EviT2_lllT3_lllT4_lT5_li.num_vgpr, 8
	.set _ZL18rocblas_rot_kernelIiLi512EfPDF16_S0_DF16_DF16_EviT2_lllT3_lllT4_lT5_li.num_agpr, 0
	.set _ZL18rocblas_rot_kernelIiLi512EfPDF16_S0_DF16_DF16_EviT2_lllT3_lllT4_lT5_li.numbered_sgpr, 24
	.set _ZL18rocblas_rot_kernelIiLi512EfPDF16_S0_DF16_DF16_EviT2_lllT3_lllT4_lT5_li.num_named_barrier, 0
	.set _ZL18rocblas_rot_kernelIiLi512EfPDF16_S0_DF16_DF16_EviT2_lllT3_lllT4_lT5_li.private_seg_size, 0
	.set _ZL18rocblas_rot_kernelIiLi512EfPDF16_S0_DF16_DF16_EviT2_lllT3_lllT4_lT5_li.uses_vcc, 1
	.set _ZL18rocblas_rot_kernelIiLi512EfPDF16_S0_DF16_DF16_EviT2_lllT3_lllT4_lT5_li.uses_flat_scratch, 0
	.set _ZL18rocblas_rot_kernelIiLi512EfPDF16_S0_DF16_DF16_EviT2_lllT3_lllT4_lT5_li.has_dyn_sized_stack, 0
	.set _ZL18rocblas_rot_kernelIiLi512EfPDF16_S0_DF16_DF16_EviT2_lllT3_lllT4_lT5_li.has_recursion, 0
	.set _ZL18rocblas_rot_kernelIiLi512EfPDF16_S0_DF16_DF16_EviT2_lllT3_lllT4_lT5_li.has_indirect_call, 0
	.section	.AMDGPU.csdata,"",@progbits
; Kernel info:
; codeLenInByte = 316
; TotalNumSgprs: 28
; NumVgprs: 8
; ScratchSize: 0
; MemoryBound: 0
; FloatMode: 240
; IeeeMode: 1
; LDSByteSize: 0 bytes/workgroup (compile time only)
; SGPRBlocks: 3
; VGPRBlocks: 1
; NumSGPRsForWavesPerEU: 28
; NumVGPRsForWavesPerEU: 8
; Occupancy: 10
; WaveLimiterHint : 0
; COMPUTE_PGM_RSRC2:SCRATCH_EN: 0
; COMPUTE_PGM_RSRC2:USER_SGPR: 6
; COMPUTE_PGM_RSRC2:TRAP_HANDLER: 0
; COMPUTE_PGM_RSRC2:TGID_X_EN: 1
; COMPUTE_PGM_RSRC2:TGID_Y_EN: 0
; COMPUTE_PGM_RSRC2:TGID_Z_EN: 1
; COMPUTE_PGM_RSRC2:TIDIG_COMP_CNT: 0
	.section	.text._ZL18rocblas_rot_kernelIiLi512E19rocblas_complex_numIfEPS1_S2_PKfS4_EviT2_lllT3_lllT4_lT5_li,"axG",@progbits,_ZL18rocblas_rot_kernelIiLi512E19rocblas_complex_numIfEPS1_S2_PKfS4_EviT2_lllT3_lllT4_lT5_li,comdat
	.globl	_ZL18rocblas_rot_kernelIiLi512E19rocblas_complex_numIfEPS1_S2_PKfS4_EviT2_lllT3_lllT4_lT5_li ; -- Begin function _ZL18rocblas_rot_kernelIiLi512E19rocblas_complex_numIfEPS1_S2_PKfS4_EviT2_lllT3_lllT4_lT5_li
	.p2align	8
	.type	_ZL18rocblas_rot_kernelIiLi512E19rocblas_complex_numIfEPS1_S2_PKfS4_EviT2_lllT3_lllT4_lT5_li,@function
_ZL18rocblas_rot_kernelIiLi512E19rocblas_complex_numIfEPS1_S2_PKfS4_EviT2_lllT3_lllT4_lT5_li: ; @_ZL18rocblas_rot_kernelIiLi512E19rocblas_complex_numIfEPS1_S2_PKfS4_EviT2_lllT3_lllT4_lT5_li
; %bb.0:
	s_load_dword s0, s[4:5], 0x0
	s_load_dword s2, s[4:5], 0x7c
	v_mov_b32_e32 v1, 0
	s_waitcnt lgkmcnt(0)
	s_ashr_i32 s1, s0, 31
	s_and_b32 s2, s2, 0xffff
	s_mul_i32 s6, s6, s2
	v_add_u32_e32 v0, s6, v0
	v_cmp_gt_i64_e32 vcc, s[0:1], v[0:1]
	s_and_saveexec_b64 s[0:1], vcc
	s_cbranch_execz .LBB8_2
; %bb.1:
	s_load_dwordx16 s[8:23], s[4:5], 0x8
	s_waitcnt lgkmcnt(0)
	s_mul_i32 s1, s23, s7
	s_mul_hi_u32 s2, s22, s7
	s_mul_i32 s0, s22, s7
	s_add_i32 s1, s2, s1
	s_lshl_b64 s[0:1], s[0:1], 3
	s_add_u32 s2, s16, s0
	s_addc_u32 s6, s17, s1
	s_lshl_b64 s[0:1], s[18:19], 3
	s_mul_i32 s3, s15, s7
	s_add_u32 s15, s2, s0
	s_mul_hi_u32 s0, s14, s7
	s_addc_u32 s6, s6, s1
	s_add_i32 s1, s0, s3
	s_mul_i32 s0, s14, s7
	s_lshl_b64 s[0:1], s[0:1], 3
	s_add_u32 s8, s8, s0
	s_addc_u32 s9, s9, s1
	v_mad_u64_u32 v[1:2], s[0:1], s12, v0, 0
	v_mad_u64_u32 v[3:4], s[2:3], s20, v0, 0
	s_lshl_b64 s[0:1], s[10:11], 3
	s_add_u32 s0, s8, s0
	v_mad_u64_u32 v[5:6], s[2:3], s13, v0, v[2:3]
	v_mov_b32_e32 v2, v4
	v_mad_u64_u32 v[6:7], s[2:3], s21, v0, v[2:3]
	v_mov_b32_e32 v2, v5
	v_lshlrev_b64 v[0:1], 3, v[1:2]
	v_mov_b32_e32 v4, v6
	v_lshlrev_b64 v[2:3], 3, v[3:4]
	v_mov_b32_e32 v4, s6
	v_add_co_u32_e32 v2, vcc, s15, v2
	s_addc_u32 s1, s9, s1
	v_addc_co_u32_e32 v3, vcc, v4, v3, vcc
	v_mov_b32_e32 v6, s1
	v_add_co_u32_e32 v0, vcc, s0, v0
	global_load_dwordx2 v[4:5], v[2:3], off
	v_addc_co_u32_e32 v1, vcc, v6, v1, vcc
	global_load_dwordx2 v[6:7], v[0:1], off
	s_load_dwordx8 s[8:15], s[4:5], 0x48
	s_waitcnt lgkmcnt(0)
	s_mul_i32 s1, s15, s7
	s_mul_hi_u32 s3, s14, s7
	s_mul_i32 s0, s14, s7
	s_add_i32 s1, s3, s1
	s_lshl_b64 s[0:1], s[0:1], 2
	s_mul_i32 s4, s11, s7
	s_mul_hi_u32 s5, s10, s7
	s_add_u32 s0, s12, s0
	s_mul_i32 s2, s10, s7
	s_addc_u32 s1, s13, s1
	s_add_i32 s3, s5, s4
	s_load_dword s4, s[0:1], 0x0
	s_lshl_b64 s[0:1], s[2:3], 2
	s_add_u32 s0, s8, s0
	s_addc_u32 s1, s9, s1
	s_load_dword s0, s[0:1], 0x0
	s_waitcnt vmcnt(1) lgkmcnt(0)
	v_mul_f32_e32 v8, s4, v4
	v_mul_f32_e32 v9, s4, v5
	s_waitcnt vmcnt(0)
	v_fmac_f32_e32 v8, s0, v6
	v_fmac_f32_e32 v9, s0, v7
	v_mul_f32_e32 v6, s4, v6
	v_mul_f32_e32 v7, s4, v7
	v_fma_f32 v4, s0, v4, -v6
	v_fma_f32 v5, s0, v5, -v7
	global_store_dwordx2 v[2:3], v[4:5], off
	global_store_dwordx2 v[0:1], v[8:9], off
.LBB8_2:
	s_endpgm
	.section	.rodata,"a",@progbits
	.p2align	6, 0x0
	.amdhsa_kernel _ZL18rocblas_rot_kernelIiLi512E19rocblas_complex_numIfEPS1_S2_PKfS4_EviT2_lllT3_lllT4_lT5_li
		.amdhsa_group_segment_fixed_size 0
		.amdhsa_private_segment_fixed_size 0
		.amdhsa_kernarg_size 368
		.amdhsa_user_sgpr_count 6
		.amdhsa_user_sgpr_private_segment_buffer 1
		.amdhsa_user_sgpr_dispatch_ptr 0
		.amdhsa_user_sgpr_queue_ptr 0
		.amdhsa_user_sgpr_kernarg_segment_ptr 1
		.amdhsa_user_sgpr_dispatch_id 0
		.amdhsa_user_sgpr_flat_scratch_init 0
		.amdhsa_user_sgpr_private_segment_size 0
		.amdhsa_uses_dynamic_stack 0
		.amdhsa_system_sgpr_private_segment_wavefront_offset 0
		.amdhsa_system_sgpr_workgroup_id_x 1
		.amdhsa_system_sgpr_workgroup_id_y 0
		.amdhsa_system_sgpr_workgroup_id_z 1
		.amdhsa_system_sgpr_workgroup_info 0
		.amdhsa_system_vgpr_workitem_id 0
		.amdhsa_next_free_vgpr 10
		.amdhsa_next_free_sgpr 24
		.amdhsa_reserve_vcc 1
		.amdhsa_reserve_flat_scratch 0
		.amdhsa_float_round_mode_32 0
		.amdhsa_float_round_mode_16_64 0
		.amdhsa_float_denorm_mode_32 3
		.amdhsa_float_denorm_mode_16_64 3
		.amdhsa_dx10_clamp 1
		.amdhsa_ieee_mode 1
		.amdhsa_fp16_overflow 0
		.amdhsa_exception_fp_ieee_invalid_op 0
		.amdhsa_exception_fp_denorm_src 0
		.amdhsa_exception_fp_ieee_div_zero 0
		.amdhsa_exception_fp_ieee_overflow 0
		.amdhsa_exception_fp_ieee_underflow 0
		.amdhsa_exception_fp_ieee_inexact 0
		.amdhsa_exception_int_div_zero 0
	.end_amdhsa_kernel
	.section	.text._ZL18rocblas_rot_kernelIiLi512E19rocblas_complex_numIfEPS1_S2_PKfS4_EviT2_lllT3_lllT4_lT5_li,"axG",@progbits,_ZL18rocblas_rot_kernelIiLi512E19rocblas_complex_numIfEPS1_S2_PKfS4_EviT2_lllT3_lllT4_lT5_li,comdat
.Lfunc_end8:
	.size	_ZL18rocblas_rot_kernelIiLi512E19rocblas_complex_numIfEPS1_S2_PKfS4_EviT2_lllT3_lllT4_lT5_li, .Lfunc_end8-_ZL18rocblas_rot_kernelIiLi512E19rocblas_complex_numIfEPS1_S2_PKfS4_EviT2_lllT3_lllT4_lT5_li
                                        ; -- End function
	.set _ZL18rocblas_rot_kernelIiLi512E19rocblas_complex_numIfEPS1_S2_PKfS4_EviT2_lllT3_lllT4_lT5_li.num_vgpr, 10
	.set _ZL18rocblas_rot_kernelIiLi512E19rocblas_complex_numIfEPS1_S2_PKfS4_EviT2_lllT3_lllT4_lT5_li.num_agpr, 0
	.set _ZL18rocblas_rot_kernelIiLi512E19rocblas_complex_numIfEPS1_S2_PKfS4_EviT2_lllT3_lllT4_lT5_li.numbered_sgpr, 24
	.set _ZL18rocblas_rot_kernelIiLi512E19rocblas_complex_numIfEPS1_S2_PKfS4_EviT2_lllT3_lllT4_lT5_li.num_named_barrier, 0
	.set _ZL18rocblas_rot_kernelIiLi512E19rocblas_complex_numIfEPS1_S2_PKfS4_EviT2_lllT3_lllT4_lT5_li.private_seg_size, 0
	.set _ZL18rocblas_rot_kernelIiLi512E19rocblas_complex_numIfEPS1_S2_PKfS4_EviT2_lllT3_lllT4_lT5_li.uses_vcc, 1
	.set _ZL18rocblas_rot_kernelIiLi512E19rocblas_complex_numIfEPS1_S2_PKfS4_EviT2_lllT3_lllT4_lT5_li.uses_flat_scratch, 0
	.set _ZL18rocblas_rot_kernelIiLi512E19rocblas_complex_numIfEPS1_S2_PKfS4_EviT2_lllT3_lllT4_lT5_li.has_dyn_sized_stack, 0
	.set _ZL18rocblas_rot_kernelIiLi512E19rocblas_complex_numIfEPS1_S2_PKfS4_EviT2_lllT3_lllT4_lT5_li.has_recursion, 0
	.set _ZL18rocblas_rot_kernelIiLi512E19rocblas_complex_numIfEPS1_S2_PKfS4_EviT2_lllT3_lllT4_lT5_li.has_indirect_call, 0
	.section	.AMDGPU.csdata,"",@progbits
; Kernel info:
; codeLenInByte = 400
; TotalNumSgprs: 28
; NumVgprs: 10
; ScratchSize: 0
; MemoryBound: 0
; FloatMode: 240
; IeeeMode: 1
; LDSByteSize: 0 bytes/workgroup (compile time only)
; SGPRBlocks: 3
; VGPRBlocks: 2
; NumSGPRsForWavesPerEU: 28
; NumVGPRsForWavesPerEU: 10
; Occupancy: 10
; WaveLimiterHint : 0
; COMPUTE_PGM_RSRC2:SCRATCH_EN: 0
; COMPUTE_PGM_RSRC2:USER_SGPR: 6
; COMPUTE_PGM_RSRC2:TRAP_HANDLER: 0
; COMPUTE_PGM_RSRC2:TGID_X_EN: 1
; COMPUTE_PGM_RSRC2:TGID_Y_EN: 0
; COMPUTE_PGM_RSRC2:TGID_Z_EN: 1
; COMPUTE_PGM_RSRC2:TIDIG_COMP_CNT: 0
	.section	.text._ZL18rocblas_rot_kernelIiLi512E19rocblas_complex_numIfEPS1_S2_ffEviT2_lllT3_lllT4_lT5_li,"axG",@progbits,_ZL18rocblas_rot_kernelIiLi512E19rocblas_complex_numIfEPS1_S2_ffEviT2_lllT3_lllT4_lT5_li,comdat
	.globl	_ZL18rocblas_rot_kernelIiLi512E19rocblas_complex_numIfEPS1_S2_ffEviT2_lllT3_lllT4_lT5_li ; -- Begin function _ZL18rocblas_rot_kernelIiLi512E19rocblas_complex_numIfEPS1_S2_ffEviT2_lllT3_lllT4_lT5_li
	.p2align	8
	.type	_ZL18rocblas_rot_kernelIiLi512E19rocblas_complex_numIfEPS1_S2_ffEviT2_lllT3_lllT4_lT5_li,@function
_ZL18rocblas_rot_kernelIiLi512E19rocblas_complex_numIfEPS1_S2_ffEviT2_lllT3_lllT4_lT5_li: ; @_ZL18rocblas_rot_kernelIiLi512E19rocblas_complex_numIfEPS1_S2_ffEviT2_lllT3_lllT4_lT5_li
; %bb.0:
	s_load_dword s0, s[4:5], 0x0
	s_load_dword s2, s[4:5], 0x7c
	v_mov_b32_e32 v1, 0
	s_waitcnt lgkmcnt(0)
	s_ashr_i32 s1, s0, 31
	s_and_b32 s2, s2, 0xffff
	s_mul_i32 s6, s6, s2
	v_add_u32_e32 v0, s6, v0
	v_cmp_gt_i64_e32 vcc, s[0:1], v[0:1]
	s_and_saveexec_b64 s[0:1], vcc
	s_cbranch_execz .LBB9_2
; %bb.1:
	s_load_dwordx16 s[8:23], s[4:5], 0x8
	s_waitcnt lgkmcnt(0)
	s_mul_i32 s1, s23, s7
	s_mul_hi_u32 s2, s22, s7
	s_mul_i32 s0, s22, s7
	s_add_i32 s1, s2, s1
	s_lshl_b64 s[0:1], s[0:1], 3
	s_add_u32 s2, s16, s0
	s_addc_u32 s6, s17, s1
	s_lshl_b64 s[0:1], s[18:19], 3
	s_mul_i32 s3, s15, s7
	s_add_u32 s15, s2, s0
	s_mul_hi_u32 s0, s14, s7
	s_addc_u32 s6, s6, s1
	s_add_i32 s1, s0, s3
	s_mul_i32 s0, s14, s7
	s_lshl_b64 s[0:1], s[0:1], 3
	s_add_u32 s7, s8, s0
	s_addc_u32 s8, s9, s1
	v_mad_u64_u32 v[1:2], s[0:1], s12, v0, 0
	v_mad_u64_u32 v[3:4], s[2:3], s20, v0, 0
	s_lshl_b64 s[0:1], s[10:11], 3
	s_add_u32 s0, s7, s0
	v_mad_u64_u32 v[5:6], s[2:3], s13, v0, v[2:3]
	v_mov_b32_e32 v2, v4
	v_mad_u64_u32 v[6:7], s[2:3], s21, v0, v[2:3]
	v_mov_b32_e32 v2, v5
	v_lshlrev_b64 v[0:1], 3, v[1:2]
	v_mov_b32_e32 v4, v6
	v_lshlrev_b64 v[2:3], 3, v[3:4]
	v_mov_b32_e32 v4, s6
	v_add_co_u32_e32 v2, vcc, s15, v2
	s_addc_u32 s1, s8, s1
	v_addc_co_u32_e32 v3, vcc, v4, v3, vcc
	v_mov_b32_e32 v6, s1
	v_add_co_u32_e32 v0, vcc, s0, v0
	global_load_dwordx2 v[4:5], v[2:3], off
	v_addc_co_u32_e32 v1, vcc, v6, v1, vcc
	global_load_dwordx2 v[6:7], v[0:1], off
	s_load_dword s0, s[4:5], 0x58
	s_load_dword s1, s[4:5], 0x48
	s_waitcnt vmcnt(1) lgkmcnt(0)
	v_mul_f32_e32 v8, s0, v4
	v_mul_f32_e32 v9, s0, v5
	s_waitcnt vmcnt(0)
	v_fmac_f32_e32 v8, s1, v6
	v_fmac_f32_e32 v9, s1, v7
	v_mul_f32_e32 v6, s0, v6
	v_mul_f32_e32 v7, s0, v7
	v_fma_f32 v4, s1, v4, -v6
	v_fma_f32 v5, s1, v5, -v7
	global_store_dwordx2 v[2:3], v[4:5], off
	global_store_dwordx2 v[0:1], v[8:9], off
.LBB9_2:
	s_endpgm
	.section	.rodata,"a",@progbits
	.p2align	6, 0x0
	.amdhsa_kernel _ZL18rocblas_rot_kernelIiLi512E19rocblas_complex_numIfEPS1_S2_ffEviT2_lllT3_lllT4_lT5_li
		.amdhsa_group_segment_fixed_size 0
		.amdhsa_private_segment_fixed_size 0
		.amdhsa_kernarg_size 368
		.amdhsa_user_sgpr_count 6
		.amdhsa_user_sgpr_private_segment_buffer 1
		.amdhsa_user_sgpr_dispatch_ptr 0
		.amdhsa_user_sgpr_queue_ptr 0
		.amdhsa_user_sgpr_kernarg_segment_ptr 1
		.amdhsa_user_sgpr_dispatch_id 0
		.amdhsa_user_sgpr_flat_scratch_init 0
		.amdhsa_user_sgpr_private_segment_size 0
		.amdhsa_uses_dynamic_stack 0
		.amdhsa_system_sgpr_private_segment_wavefront_offset 0
		.amdhsa_system_sgpr_workgroup_id_x 1
		.amdhsa_system_sgpr_workgroup_id_y 0
		.amdhsa_system_sgpr_workgroup_id_z 1
		.amdhsa_system_sgpr_workgroup_info 0
		.amdhsa_system_vgpr_workitem_id 0
		.amdhsa_next_free_vgpr 10
		.amdhsa_next_free_sgpr 24
		.amdhsa_reserve_vcc 1
		.amdhsa_reserve_flat_scratch 0
		.amdhsa_float_round_mode_32 0
		.amdhsa_float_round_mode_16_64 0
		.amdhsa_float_denorm_mode_32 3
		.amdhsa_float_denorm_mode_16_64 3
		.amdhsa_dx10_clamp 1
		.amdhsa_ieee_mode 1
		.amdhsa_fp16_overflow 0
		.amdhsa_exception_fp_ieee_invalid_op 0
		.amdhsa_exception_fp_denorm_src 0
		.amdhsa_exception_fp_ieee_div_zero 0
		.amdhsa_exception_fp_ieee_overflow 0
		.amdhsa_exception_fp_ieee_underflow 0
		.amdhsa_exception_fp_ieee_inexact 0
		.amdhsa_exception_int_div_zero 0
	.end_amdhsa_kernel
	.section	.text._ZL18rocblas_rot_kernelIiLi512E19rocblas_complex_numIfEPS1_S2_ffEviT2_lllT3_lllT4_lT5_li,"axG",@progbits,_ZL18rocblas_rot_kernelIiLi512E19rocblas_complex_numIfEPS1_S2_ffEviT2_lllT3_lllT4_lT5_li,comdat
.Lfunc_end9:
	.size	_ZL18rocblas_rot_kernelIiLi512E19rocblas_complex_numIfEPS1_S2_ffEviT2_lllT3_lllT4_lT5_li, .Lfunc_end9-_ZL18rocblas_rot_kernelIiLi512E19rocblas_complex_numIfEPS1_S2_ffEviT2_lllT3_lllT4_lT5_li
                                        ; -- End function
	.set _ZL18rocblas_rot_kernelIiLi512E19rocblas_complex_numIfEPS1_S2_ffEviT2_lllT3_lllT4_lT5_li.num_vgpr, 10
	.set _ZL18rocblas_rot_kernelIiLi512E19rocblas_complex_numIfEPS1_S2_ffEviT2_lllT3_lllT4_lT5_li.num_agpr, 0
	.set _ZL18rocblas_rot_kernelIiLi512E19rocblas_complex_numIfEPS1_S2_ffEviT2_lllT3_lllT4_lT5_li.numbered_sgpr, 24
	.set _ZL18rocblas_rot_kernelIiLi512E19rocblas_complex_numIfEPS1_S2_ffEviT2_lllT3_lllT4_lT5_li.num_named_barrier, 0
	.set _ZL18rocblas_rot_kernelIiLi512E19rocblas_complex_numIfEPS1_S2_ffEviT2_lllT3_lllT4_lT5_li.private_seg_size, 0
	.set _ZL18rocblas_rot_kernelIiLi512E19rocblas_complex_numIfEPS1_S2_ffEviT2_lllT3_lllT4_lT5_li.uses_vcc, 1
	.set _ZL18rocblas_rot_kernelIiLi512E19rocblas_complex_numIfEPS1_S2_ffEviT2_lllT3_lllT4_lT5_li.uses_flat_scratch, 0
	.set _ZL18rocblas_rot_kernelIiLi512E19rocblas_complex_numIfEPS1_S2_ffEviT2_lllT3_lllT4_lT5_li.has_dyn_sized_stack, 0
	.set _ZL18rocblas_rot_kernelIiLi512E19rocblas_complex_numIfEPS1_S2_ffEviT2_lllT3_lllT4_lT5_li.has_recursion, 0
	.set _ZL18rocblas_rot_kernelIiLi512E19rocblas_complex_numIfEPS1_S2_ffEviT2_lllT3_lllT4_lT5_li.has_indirect_call, 0
	.section	.AMDGPU.csdata,"",@progbits
; Kernel info:
; codeLenInByte = 332
; TotalNumSgprs: 28
; NumVgprs: 10
; ScratchSize: 0
; MemoryBound: 0
; FloatMode: 240
; IeeeMode: 1
; LDSByteSize: 0 bytes/workgroup (compile time only)
; SGPRBlocks: 3
; VGPRBlocks: 2
; NumSGPRsForWavesPerEU: 28
; NumVGPRsForWavesPerEU: 10
; Occupancy: 10
; WaveLimiterHint : 0
; COMPUTE_PGM_RSRC2:SCRATCH_EN: 0
; COMPUTE_PGM_RSRC2:USER_SGPR: 6
; COMPUTE_PGM_RSRC2:TRAP_HANDLER: 0
; COMPUTE_PGM_RSRC2:TGID_X_EN: 1
; COMPUTE_PGM_RSRC2:TGID_Y_EN: 0
; COMPUTE_PGM_RSRC2:TGID_Z_EN: 1
; COMPUTE_PGM_RSRC2:TIDIG_COMP_CNT: 0
	.section	.text._ZL18rocblas_rot_kernelIiLi512E19rocblas_complex_numIfEPS1_S2_PKfPKS1_EviT2_lllT3_lllT4_lT5_li,"axG",@progbits,_ZL18rocblas_rot_kernelIiLi512E19rocblas_complex_numIfEPS1_S2_PKfPKS1_EviT2_lllT3_lllT4_lT5_li,comdat
	.globl	_ZL18rocblas_rot_kernelIiLi512E19rocblas_complex_numIfEPS1_S2_PKfPKS1_EviT2_lllT3_lllT4_lT5_li ; -- Begin function _ZL18rocblas_rot_kernelIiLi512E19rocblas_complex_numIfEPS1_S2_PKfPKS1_EviT2_lllT3_lllT4_lT5_li
	.p2align	8
	.type	_ZL18rocblas_rot_kernelIiLi512E19rocblas_complex_numIfEPS1_S2_PKfPKS1_EviT2_lllT3_lllT4_lT5_li,@function
_ZL18rocblas_rot_kernelIiLi512E19rocblas_complex_numIfEPS1_S2_PKfPKS1_EviT2_lllT3_lllT4_lT5_li: ; @_ZL18rocblas_rot_kernelIiLi512E19rocblas_complex_numIfEPS1_S2_PKfPKS1_EviT2_lllT3_lllT4_lT5_li
; %bb.0:
	s_load_dword s0, s[4:5], 0x0
	s_load_dword s2, s[4:5], 0x7c
	v_mov_b32_e32 v1, 0
	s_waitcnt lgkmcnt(0)
	s_ashr_i32 s1, s0, 31
	s_and_b32 s2, s2, 0xffff
	s_mul_i32 s6, s6, s2
	v_add_u32_e32 v0, s6, v0
	v_cmp_gt_i64_e32 vcc, s[0:1], v[0:1]
	s_and_saveexec_b64 s[0:1], vcc
	s_cbranch_execz .LBB10_2
; %bb.1:
	s_load_dwordx16 s[8:23], s[4:5], 0x8
	s_waitcnt lgkmcnt(0)
	s_mul_i32 s1, s23, s7
	s_mul_hi_u32 s2, s22, s7
	s_mul_i32 s0, s22, s7
	s_add_i32 s1, s2, s1
	s_lshl_b64 s[0:1], s[0:1], 3
	s_add_u32 s2, s16, s0
	s_addc_u32 s6, s17, s1
	s_lshl_b64 s[0:1], s[18:19], 3
	s_mul_i32 s3, s15, s7
	s_add_u32 s15, s2, s0
	s_mul_hi_u32 s0, s14, s7
	s_addc_u32 s6, s6, s1
	s_add_i32 s1, s0, s3
	s_mul_i32 s0, s14, s7
	s_lshl_b64 s[0:1], s[0:1], 3
	s_add_u32 s8, s8, s0
	s_addc_u32 s9, s9, s1
	v_mad_u64_u32 v[1:2], s[0:1], s12, v0, 0
	v_mad_u64_u32 v[3:4], s[2:3], s20, v0, 0
	s_lshl_b64 s[0:1], s[10:11], 3
	s_add_u32 s0, s8, s0
	v_mad_u64_u32 v[5:6], s[2:3], s13, v0, v[2:3]
	v_mov_b32_e32 v2, v4
	v_mad_u64_u32 v[6:7], s[2:3], s21, v0, v[2:3]
	v_mov_b32_e32 v2, v5
	v_lshlrev_b64 v[0:1], 3, v[1:2]
	v_mov_b32_e32 v4, v6
	v_lshlrev_b64 v[2:3], 3, v[3:4]
	v_mov_b32_e32 v4, s6
	v_add_co_u32_e32 v2, vcc, s15, v2
	s_addc_u32 s1, s9, s1
	v_addc_co_u32_e32 v3, vcc, v4, v3, vcc
	v_mov_b32_e32 v6, s1
	v_add_co_u32_e32 v0, vcc, s0, v0
	global_load_dwordx2 v[4:5], v[2:3], off
	v_addc_co_u32_e32 v1, vcc, v6, v1, vcc
	global_load_dwordx2 v[6:7], v[0:1], off
	s_load_dwordx8 s[8:15], s[4:5], 0x48
	s_waitcnt lgkmcnt(0)
	s_mul_i32 s1, s15, s7
	s_mul_hi_u32 s3, s14, s7
	s_mul_i32 s0, s14, s7
	s_add_i32 s1, s3, s1
	s_lshl_b64 s[0:1], s[0:1], 3
	s_mul_i32 s4, s11, s7
	s_mul_hi_u32 s5, s10, s7
	s_add_u32 s0, s12, s0
	s_mul_i32 s2, s10, s7
	s_addc_u32 s1, s13, s1
	s_add_i32 s3, s5, s4
	s_load_dwordx2 s[4:5], s[0:1], 0x0
	s_lshl_b64 s[0:1], s[2:3], 2
	s_add_u32 s0, s8, s0
	s_addc_u32 s1, s9, s1
	s_load_dword s0, s[0:1], 0x0
	s_waitcnt vmcnt(1) lgkmcnt(0)
	v_mul_f32_e32 v8, s5, v5
	v_fma_f32 v8, s4, v4, -v8
	v_mul_f32_e32 v9, s4, v5
	s_waitcnt vmcnt(0)
	v_mul_f32_e32 v10, s5, v7
	v_mul_f32_e32 v11, s5, v6
	v_fmac_f32_e32 v8, s0, v6
	v_fmac_f32_e32 v10, s4, v6
	v_fma_f32 v6, s4, v7, -v11
	v_fmac_f32_e32 v9, s5, v4
	v_fma_f32 v4, s0, v4, -v10
	v_fma_f32 v5, s0, v5, -v6
	v_fmac_f32_e32 v9, s0, v7
	global_store_dwordx2 v[2:3], v[4:5], off
	global_store_dwordx2 v[0:1], v[8:9], off
.LBB10_2:
	s_endpgm
	.section	.rodata,"a",@progbits
	.p2align	6, 0x0
	.amdhsa_kernel _ZL18rocblas_rot_kernelIiLi512E19rocblas_complex_numIfEPS1_S2_PKfPKS1_EviT2_lllT3_lllT4_lT5_li
		.amdhsa_group_segment_fixed_size 0
		.amdhsa_private_segment_fixed_size 0
		.amdhsa_kernarg_size 368
		.amdhsa_user_sgpr_count 6
		.amdhsa_user_sgpr_private_segment_buffer 1
		.amdhsa_user_sgpr_dispatch_ptr 0
		.amdhsa_user_sgpr_queue_ptr 0
		.amdhsa_user_sgpr_kernarg_segment_ptr 1
		.amdhsa_user_sgpr_dispatch_id 0
		.amdhsa_user_sgpr_flat_scratch_init 0
		.amdhsa_user_sgpr_private_segment_size 0
		.amdhsa_uses_dynamic_stack 0
		.amdhsa_system_sgpr_private_segment_wavefront_offset 0
		.amdhsa_system_sgpr_workgroup_id_x 1
		.amdhsa_system_sgpr_workgroup_id_y 0
		.amdhsa_system_sgpr_workgroup_id_z 1
		.amdhsa_system_sgpr_workgroup_info 0
		.amdhsa_system_vgpr_workitem_id 0
		.amdhsa_next_free_vgpr 12
		.amdhsa_next_free_sgpr 24
		.amdhsa_reserve_vcc 1
		.amdhsa_reserve_flat_scratch 0
		.amdhsa_float_round_mode_32 0
		.amdhsa_float_round_mode_16_64 0
		.amdhsa_float_denorm_mode_32 3
		.amdhsa_float_denorm_mode_16_64 3
		.amdhsa_dx10_clamp 1
		.amdhsa_ieee_mode 1
		.amdhsa_fp16_overflow 0
		.amdhsa_exception_fp_ieee_invalid_op 0
		.amdhsa_exception_fp_denorm_src 0
		.amdhsa_exception_fp_ieee_div_zero 0
		.amdhsa_exception_fp_ieee_overflow 0
		.amdhsa_exception_fp_ieee_underflow 0
		.amdhsa_exception_fp_ieee_inexact 0
		.amdhsa_exception_int_div_zero 0
	.end_amdhsa_kernel
	.section	.text._ZL18rocblas_rot_kernelIiLi512E19rocblas_complex_numIfEPS1_S2_PKfPKS1_EviT2_lllT3_lllT4_lT5_li,"axG",@progbits,_ZL18rocblas_rot_kernelIiLi512E19rocblas_complex_numIfEPS1_S2_PKfPKS1_EviT2_lllT3_lllT4_lT5_li,comdat
.Lfunc_end10:
	.size	_ZL18rocblas_rot_kernelIiLi512E19rocblas_complex_numIfEPS1_S2_PKfPKS1_EviT2_lllT3_lllT4_lT5_li, .Lfunc_end10-_ZL18rocblas_rot_kernelIiLi512E19rocblas_complex_numIfEPS1_S2_PKfPKS1_EviT2_lllT3_lllT4_lT5_li
                                        ; -- End function
	.set _ZL18rocblas_rot_kernelIiLi512E19rocblas_complex_numIfEPS1_S2_PKfPKS1_EviT2_lllT3_lllT4_lT5_li.num_vgpr, 12
	.set _ZL18rocblas_rot_kernelIiLi512E19rocblas_complex_numIfEPS1_S2_PKfPKS1_EviT2_lllT3_lllT4_lT5_li.num_agpr, 0
	.set _ZL18rocblas_rot_kernelIiLi512E19rocblas_complex_numIfEPS1_S2_PKfPKS1_EviT2_lllT3_lllT4_lT5_li.numbered_sgpr, 24
	.set _ZL18rocblas_rot_kernelIiLi512E19rocblas_complex_numIfEPS1_S2_PKfPKS1_EviT2_lllT3_lllT4_lT5_li.num_named_barrier, 0
	.set _ZL18rocblas_rot_kernelIiLi512E19rocblas_complex_numIfEPS1_S2_PKfPKS1_EviT2_lllT3_lllT4_lT5_li.private_seg_size, 0
	.set _ZL18rocblas_rot_kernelIiLi512E19rocblas_complex_numIfEPS1_S2_PKfPKS1_EviT2_lllT3_lllT4_lT5_li.uses_vcc, 1
	.set _ZL18rocblas_rot_kernelIiLi512E19rocblas_complex_numIfEPS1_S2_PKfPKS1_EviT2_lllT3_lllT4_lT5_li.uses_flat_scratch, 0
	.set _ZL18rocblas_rot_kernelIiLi512E19rocblas_complex_numIfEPS1_S2_PKfPKS1_EviT2_lllT3_lllT4_lT5_li.has_dyn_sized_stack, 0
	.set _ZL18rocblas_rot_kernelIiLi512E19rocblas_complex_numIfEPS1_S2_PKfPKS1_EviT2_lllT3_lllT4_lT5_li.has_recursion, 0
	.set _ZL18rocblas_rot_kernelIiLi512E19rocblas_complex_numIfEPS1_S2_PKfPKS1_EviT2_lllT3_lllT4_lT5_li.has_indirect_call, 0
	.section	.AMDGPU.csdata,"",@progbits
; Kernel info:
; codeLenInByte = 424
; TotalNumSgprs: 28
; NumVgprs: 12
; ScratchSize: 0
; MemoryBound: 0
; FloatMode: 240
; IeeeMode: 1
; LDSByteSize: 0 bytes/workgroup (compile time only)
; SGPRBlocks: 3
; VGPRBlocks: 2
; NumSGPRsForWavesPerEU: 28
; NumVGPRsForWavesPerEU: 12
; Occupancy: 10
; WaveLimiterHint : 0
; COMPUTE_PGM_RSRC2:SCRATCH_EN: 0
; COMPUTE_PGM_RSRC2:USER_SGPR: 6
; COMPUTE_PGM_RSRC2:TRAP_HANDLER: 0
; COMPUTE_PGM_RSRC2:TGID_X_EN: 1
; COMPUTE_PGM_RSRC2:TGID_Y_EN: 0
; COMPUTE_PGM_RSRC2:TGID_Z_EN: 1
; COMPUTE_PGM_RSRC2:TIDIG_COMP_CNT: 0
	.section	.text._ZL18rocblas_rot_kernelIiLi512E19rocblas_complex_numIfEPS1_S2_fS1_EviT2_lllT3_lllT4_lT5_li,"axG",@progbits,_ZL18rocblas_rot_kernelIiLi512E19rocblas_complex_numIfEPS1_S2_fS1_EviT2_lllT3_lllT4_lT5_li,comdat
	.globl	_ZL18rocblas_rot_kernelIiLi512E19rocblas_complex_numIfEPS1_S2_fS1_EviT2_lllT3_lllT4_lT5_li ; -- Begin function _ZL18rocblas_rot_kernelIiLi512E19rocblas_complex_numIfEPS1_S2_fS1_EviT2_lllT3_lllT4_lT5_li
	.p2align	8
	.type	_ZL18rocblas_rot_kernelIiLi512E19rocblas_complex_numIfEPS1_S2_fS1_EviT2_lllT3_lllT4_lT5_li,@function
_ZL18rocblas_rot_kernelIiLi512E19rocblas_complex_numIfEPS1_S2_fS1_EviT2_lllT3_lllT4_lT5_li: ; @_ZL18rocblas_rot_kernelIiLi512E19rocblas_complex_numIfEPS1_S2_fS1_EviT2_lllT3_lllT4_lT5_li
; %bb.0:
	s_load_dword s0, s[4:5], 0x0
	s_load_dword s2, s[4:5], 0x7c
	v_mov_b32_e32 v1, 0
	s_waitcnt lgkmcnt(0)
	s_ashr_i32 s1, s0, 31
	s_and_b32 s2, s2, 0xffff
	s_mul_i32 s6, s6, s2
	v_add_u32_e32 v0, s6, v0
	v_cmp_gt_i64_e32 vcc, s[0:1], v[0:1]
	s_and_saveexec_b64 s[0:1], vcc
	s_cbranch_execz .LBB11_2
; %bb.1:
	s_load_dwordx16 s[8:23], s[4:5], 0x8
	s_waitcnt lgkmcnt(0)
	s_mul_i32 s1, s23, s7
	s_mul_hi_u32 s2, s22, s7
	s_mul_i32 s0, s22, s7
	s_add_i32 s1, s2, s1
	s_lshl_b64 s[0:1], s[0:1], 3
	s_add_u32 s2, s16, s0
	s_addc_u32 s6, s17, s1
	s_lshl_b64 s[0:1], s[18:19], 3
	s_mul_i32 s3, s15, s7
	s_add_u32 s15, s2, s0
	s_mul_hi_u32 s0, s14, s7
	s_addc_u32 s6, s6, s1
	s_add_i32 s1, s0, s3
	s_mul_i32 s0, s14, s7
	s_lshl_b64 s[0:1], s[0:1], 3
	s_add_u32 s7, s8, s0
	s_addc_u32 s8, s9, s1
	v_mad_u64_u32 v[1:2], s[0:1], s12, v0, 0
	v_mad_u64_u32 v[3:4], s[2:3], s20, v0, 0
	s_lshl_b64 s[0:1], s[10:11], 3
	s_add_u32 s0, s7, s0
	v_mad_u64_u32 v[5:6], s[2:3], s13, v0, v[2:3]
	v_mov_b32_e32 v2, v4
	v_mad_u64_u32 v[6:7], s[2:3], s21, v0, v[2:3]
	v_mov_b32_e32 v2, v5
	v_lshlrev_b64 v[0:1], 3, v[1:2]
	v_mov_b32_e32 v4, v6
	v_lshlrev_b64 v[2:3], 3, v[3:4]
	v_mov_b32_e32 v4, s6
	v_add_co_u32_e32 v2, vcc, s15, v2
	s_addc_u32 s1, s8, s1
	v_addc_co_u32_e32 v3, vcc, v4, v3, vcc
	v_mov_b32_e32 v6, s1
	v_add_co_u32_e32 v0, vcc, s0, v0
	global_load_dwordx2 v[4:5], v[2:3], off
	v_addc_co_u32_e32 v1, vcc, v6, v1, vcc
	global_load_dwordx2 v[6:7], v[0:1], off
	s_load_dwordx2 s[0:1], s[4:5], 0x58
	s_load_dword s2, s[4:5], 0x48
	s_waitcnt vmcnt(1) lgkmcnt(0)
	v_mul_f32_e32 v8, s1, v5
	v_fma_f32 v8, s0, v4, -v8
	v_mul_f32_e32 v9, s0, v5
	s_waitcnt vmcnt(0)
	v_mul_f32_e32 v10, s1, v7
	v_mul_f32_e32 v11, s1, v6
	v_fmac_f32_e32 v8, s2, v6
	v_fmac_f32_e32 v10, s0, v6
	v_fma_f32 v6, s0, v7, -v11
	v_fmac_f32_e32 v9, s1, v4
	v_fma_f32 v4, s2, v4, -v10
	v_fma_f32 v5, s2, v5, -v6
	v_fmac_f32_e32 v9, s2, v7
	global_store_dwordx2 v[2:3], v[4:5], off
	global_store_dwordx2 v[0:1], v[8:9], off
.LBB11_2:
	s_endpgm
	.section	.rodata,"a",@progbits
	.p2align	6, 0x0
	.amdhsa_kernel _ZL18rocblas_rot_kernelIiLi512E19rocblas_complex_numIfEPS1_S2_fS1_EviT2_lllT3_lllT4_lT5_li
		.amdhsa_group_segment_fixed_size 0
		.amdhsa_private_segment_fixed_size 0
		.amdhsa_kernarg_size 368
		.amdhsa_user_sgpr_count 6
		.amdhsa_user_sgpr_private_segment_buffer 1
		.amdhsa_user_sgpr_dispatch_ptr 0
		.amdhsa_user_sgpr_queue_ptr 0
		.amdhsa_user_sgpr_kernarg_segment_ptr 1
		.amdhsa_user_sgpr_dispatch_id 0
		.amdhsa_user_sgpr_flat_scratch_init 0
		.amdhsa_user_sgpr_private_segment_size 0
		.amdhsa_uses_dynamic_stack 0
		.amdhsa_system_sgpr_private_segment_wavefront_offset 0
		.amdhsa_system_sgpr_workgroup_id_x 1
		.amdhsa_system_sgpr_workgroup_id_y 0
		.amdhsa_system_sgpr_workgroup_id_z 1
		.amdhsa_system_sgpr_workgroup_info 0
		.amdhsa_system_vgpr_workitem_id 0
		.amdhsa_next_free_vgpr 12
		.amdhsa_next_free_sgpr 24
		.amdhsa_reserve_vcc 1
		.amdhsa_reserve_flat_scratch 0
		.amdhsa_float_round_mode_32 0
		.amdhsa_float_round_mode_16_64 0
		.amdhsa_float_denorm_mode_32 3
		.amdhsa_float_denorm_mode_16_64 3
		.amdhsa_dx10_clamp 1
		.amdhsa_ieee_mode 1
		.amdhsa_fp16_overflow 0
		.amdhsa_exception_fp_ieee_invalid_op 0
		.amdhsa_exception_fp_denorm_src 0
		.amdhsa_exception_fp_ieee_div_zero 0
		.amdhsa_exception_fp_ieee_overflow 0
		.amdhsa_exception_fp_ieee_underflow 0
		.amdhsa_exception_fp_ieee_inexact 0
		.amdhsa_exception_int_div_zero 0
	.end_amdhsa_kernel
	.section	.text._ZL18rocblas_rot_kernelIiLi512E19rocblas_complex_numIfEPS1_S2_fS1_EviT2_lllT3_lllT4_lT5_li,"axG",@progbits,_ZL18rocblas_rot_kernelIiLi512E19rocblas_complex_numIfEPS1_S2_fS1_EviT2_lllT3_lllT4_lT5_li,comdat
.Lfunc_end11:
	.size	_ZL18rocblas_rot_kernelIiLi512E19rocblas_complex_numIfEPS1_S2_fS1_EviT2_lllT3_lllT4_lT5_li, .Lfunc_end11-_ZL18rocblas_rot_kernelIiLi512E19rocblas_complex_numIfEPS1_S2_fS1_EviT2_lllT3_lllT4_lT5_li
                                        ; -- End function
	.set _ZL18rocblas_rot_kernelIiLi512E19rocblas_complex_numIfEPS1_S2_fS1_EviT2_lllT3_lllT4_lT5_li.num_vgpr, 12
	.set _ZL18rocblas_rot_kernelIiLi512E19rocblas_complex_numIfEPS1_S2_fS1_EviT2_lllT3_lllT4_lT5_li.num_agpr, 0
	.set _ZL18rocblas_rot_kernelIiLi512E19rocblas_complex_numIfEPS1_S2_fS1_EviT2_lllT3_lllT4_lT5_li.numbered_sgpr, 24
	.set _ZL18rocblas_rot_kernelIiLi512E19rocblas_complex_numIfEPS1_S2_fS1_EviT2_lllT3_lllT4_lT5_li.num_named_barrier, 0
	.set _ZL18rocblas_rot_kernelIiLi512E19rocblas_complex_numIfEPS1_S2_fS1_EviT2_lllT3_lllT4_lT5_li.private_seg_size, 0
	.set _ZL18rocblas_rot_kernelIiLi512E19rocblas_complex_numIfEPS1_S2_fS1_EviT2_lllT3_lllT4_lT5_li.uses_vcc, 1
	.set _ZL18rocblas_rot_kernelIiLi512E19rocblas_complex_numIfEPS1_S2_fS1_EviT2_lllT3_lllT4_lT5_li.uses_flat_scratch, 0
	.set _ZL18rocblas_rot_kernelIiLi512E19rocblas_complex_numIfEPS1_S2_fS1_EviT2_lllT3_lllT4_lT5_li.has_dyn_sized_stack, 0
	.set _ZL18rocblas_rot_kernelIiLi512E19rocblas_complex_numIfEPS1_S2_fS1_EviT2_lllT3_lllT4_lT5_li.has_recursion, 0
	.set _ZL18rocblas_rot_kernelIiLi512E19rocblas_complex_numIfEPS1_S2_fS1_EviT2_lllT3_lllT4_lT5_li.has_indirect_call, 0
	.section	.AMDGPU.csdata,"",@progbits
; Kernel info:
; codeLenInByte = 356
; TotalNumSgprs: 28
; NumVgprs: 12
; ScratchSize: 0
; MemoryBound: 0
; FloatMode: 240
; IeeeMode: 1
; LDSByteSize: 0 bytes/workgroup (compile time only)
; SGPRBlocks: 3
; VGPRBlocks: 2
; NumSGPRsForWavesPerEU: 28
; NumVGPRsForWavesPerEU: 12
; Occupancy: 10
; WaveLimiterHint : 0
; COMPUTE_PGM_RSRC2:SCRATCH_EN: 0
; COMPUTE_PGM_RSRC2:USER_SGPR: 6
; COMPUTE_PGM_RSRC2:TRAP_HANDLER: 0
; COMPUTE_PGM_RSRC2:TGID_X_EN: 1
; COMPUTE_PGM_RSRC2:TGID_Y_EN: 0
; COMPUTE_PGM_RSRC2:TGID_Z_EN: 1
; COMPUTE_PGM_RSRC2:TIDIG_COMP_CNT: 0
	.section	.text._ZL18rocblas_rot_kernelIiLi512E19rocblas_complex_numIfEPS1_S2_PKS1_S4_EviT2_lllT3_lllT4_lT5_li,"axG",@progbits,_ZL18rocblas_rot_kernelIiLi512E19rocblas_complex_numIfEPS1_S2_PKS1_S4_EviT2_lllT3_lllT4_lT5_li,comdat
	.globl	_ZL18rocblas_rot_kernelIiLi512E19rocblas_complex_numIfEPS1_S2_PKS1_S4_EviT2_lllT3_lllT4_lT5_li ; -- Begin function _ZL18rocblas_rot_kernelIiLi512E19rocblas_complex_numIfEPS1_S2_PKS1_S4_EviT2_lllT3_lllT4_lT5_li
	.p2align	8
	.type	_ZL18rocblas_rot_kernelIiLi512E19rocblas_complex_numIfEPS1_S2_PKS1_S4_EviT2_lllT3_lllT4_lT5_li,@function
_ZL18rocblas_rot_kernelIiLi512E19rocblas_complex_numIfEPS1_S2_PKS1_S4_EviT2_lllT3_lllT4_lT5_li: ; @_ZL18rocblas_rot_kernelIiLi512E19rocblas_complex_numIfEPS1_S2_PKS1_S4_EviT2_lllT3_lllT4_lT5_li
; %bb.0:
	s_load_dword s0, s[4:5], 0x0
	s_load_dword s2, s[4:5], 0x7c
	v_mov_b32_e32 v1, 0
	s_waitcnt lgkmcnt(0)
	s_ashr_i32 s1, s0, 31
	s_and_b32 s2, s2, 0xffff
	s_mul_i32 s6, s6, s2
	v_add_u32_e32 v0, s6, v0
	v_cmp_gt_i64_e32 vcc, s[0:1], v[0:1]
	s_and_saveexec_b64 s[0:1], vcc
	s_cbranch_execz .LBB12_2
; %bb.1:
	s_load_dwordx16 s[8:23], s[4:5], 0x8
	s_waitcnt lgkmcnt(0)
	s_mul_i32 s1, s23, s7
	s_mul_hi_u32 s2, s22, s7
	s_mul_i32 s0, s22, s7
	s_add_i32 s1, s2, s1
	s_lshl_b64 s[0:1], s[0:1], 3
	s_add_u32 s2, s16, s0
	s_addc_u32 s6, s17, s1
	s_lshl_b64 s[0:1], s[18:19], 3
	s_mul_i32 s3, s15, s7
	s_add_u32 s15, s2, s0
	s_mul_hi_u32 s0, s14, s7
	s_addc_u32 s6, s6, s1
	s_add_i32 s1, s0, s3
	s_mul_i32 s0, s14, s7
	s_lshl_b64 s[0:1], s[0:1], 3
	s_add_u32 s8, s8, s0
	s_addc_u32 s9, s9, s1
	v_mad_u64_u32 v[1:2], s[0:1], s12, v0, 0
	v_mad_u64_u32 v[3:4], s[2:3], s20, v0, 0
	s_lshl_b64 s[0:1], s[10:11], 3
	s_add_u32 s0, s8, s0
	v_mad_u64_u32 v[5:6], s[2:3], s13, v0, v[2:3]
	v_mov_b32_e32 v2, v4
	v_mad_u64_u32 v[6:7], s[2:3], s21, v0, v[2:3]
	v_mov_b32_e32 v2, v5
	v_lshlrev_b64 v[0:1], 3, v[1:2]
	v_mov_b32_e32 v4, v6
	v_lshlrev_b64 v[2:3], 3, v[3:4]
	v_mov_b32_e32 v4, s6
	v_add_co_u32_e32 v2, vcc, s15, v2
	s_addc_u32 s1, s9, s1
	v_addc_co_u32_e32 v3, vcc, v4, v3, vcc
	v_mov_b32_e32 v6, s1
	v_add_co_u32_e32 v0, vcc, s0, v0
	global_load_dwordx2 v[4:5], v[2:3], off
	v_addc_co_u32_e32 v1, vcc, v6, v1, vcc
	global_load_dwordx2 v[6:7], v[0:1], off
	s_load_dwordx8 s[8:15], s[4:5], 0x48
	s_waitcnt lgkmcnt(0)
	s_mul_i32 s1, s15, s7
	s_mul_hi_u32 s3, s14, s7
	s_mul_i32 s0, s14, s7
	s_add_i32 s1, s3, s1
	s_lshl_b64 s[0:1], s[0:1], 3
	s_mul_i32 s4, s11, s7
	s_mul_hi_u32 s5, s10, s7
	s_add_u32 s0, s12, s0
	s_mul_i32 s2, s10, s7
	s_addc_u32 s1, s13, s1
	s_add_i32 s3, s5, s4
	s_load_dwordx2 s[4:5], s[0:1], 0x0
	s_lshl_b64 s[0:1], s[2:3], 3
	s_add_u32 s0, s8, s0
	s_addc_u32 s1, s9, s1
	s_load_dword s0, s[0:1], 0x0
	s_waitcnt vmcnt(1) lgkmcnt(0)
	v_mul_f32_e32 v8, s5, v5
	v_fma_f32 v8, s4, v4, -v8
	v_mul_f32_e32 v9, s4, v5
	s_waitcnt vmcnt(0)
	v_mul_f32_e32 v10, s5, v7
	v_mul_f32_e32 v11, s5, v6
	v_fmac_f32_e32 v8, s0, v6
	v_fmac_f32_e32 v10, s4, v6
	v_fma_f32 v6, s4, v7, -v11
	v_fmac_f32_e32 v9, s5, v4
	v_fma_f32 v4, s0, v4, -v10
	v_fma_f32 v5, s0, v5, -v6
	v_fmac_f32_e32 v9, s0, v7
	global_store_dwordx2 v[2:3], v[4:5], off
	global_store_dwordx2 v[0:1], v[8:9], off
.LBB12_2:
	s_endpgm
	.section	.rodata,"a",@progbits
	.p2align	6, 0x0
	.amdhsa_kernel _ZL18rocblas_rot_kernelIiLi512E19rocblas_complex_numIfEPS1_S2_PKS1_S4_EviT2_lllT3_lllT4_lT5_li
		.amdhsa_group_segment_fixed_size 0
		.amdhsa_private_segment_fixed_size 0
		.amdhsa_kernarg_size 368
		.amdhsa_user_sgpr_count 6
		.amdhsa_user_sgpr_private_segment_buffer 1
		.amdhsa_user_sgpr_dispatch_ptr 0
		.amdhsa_user_sgpr_queue_ptr 0
		.amdhsa_user_sgpr_kernarg_segment_ptr 1
		.amdhsa_user_sgpr_dispatch_id 0
		.amdhsa_user_sgpr_flat_scratch_init 0
		.amdhsa_user_sgpr_private_segment_size 0
		.amdhsa_uses_dynamic_stack 0
		.amdhsa_system_sgpr_private_segment_wavefront_offset 0
		.amdhsa_system_sgpr_workgroup_id_x 1
		.amdhsa_system_sgpr_workgroup_id_y 0
		.amdhsa_system_sgpr_workgroup_id_z 1
		.amdhsa_system_sgpr_workgroup_info 0
		.amdhsa_system_vgpr_workitem_id 0
		.amdhsa_next_free_vgpr 12
		.amdhsa_next_free_sgpr 24
		.amdhsa_reserve_vcc 1
		.amdhsa_reserve_flat_scratch 0
		.amdhsa_float_round_mode_32 0
		.amdhsa_float_round_mode_16_64 0
		.amdhsa_float_denorm_mode_32 3
		.amdhsa_float_denorm_mode_16_64 3
		.amdhsa_dx10_clamp 1
		.amdhsa_ieee_mode 1
		.amdhsa_fp16_overflow 0
		.amdhsa_exception_fp_ieee_invalid_op 0
		.amdhsa_exception_fp_denorm_src 0
		.amdhsa_exception_fp_ieee_div_zero 0
		.amdhsa_exception_fp_ieee_overflow 0
		.amdhsa_exception_fp_ieee_underflow 0
		.amdhsa_exception_fp_ieee_inexact 0
		.amdhsa_exception_int_div_zero 0
	.end_amdhsa_kernel
	.section	.text._ZL18rocblas_rot_kernelIiLi512E19rocblas_complex_numIfEPS1_S2_PKS1_S4_EviT2_lllT3_lllT4_lT5_li,"axG",@progbits,_ZL18rocblas_rot_kernelIiLi512E19rocblas_complex_numIfEPS1_S2_PKS1_S4_EviT2_lllT3_lllT4_lT5_li,comdat
.Lfunc_end12:
	.size	_ZL18rocblas_rot_kernelIiLi512E19rocblas_complex_numIfEPS1_S2_PKS1_S4_EviT2_lllT3_lllT4_lT5_li, .Lfunc_end12-_ZL18rocblas_rot_kernelIiLi512E19rocblas_complex_numIfEPS1_S2_PKS1_S4_EviT2_lllT3_lllT4_lT5_li
                                        ; -- End function
	.set _ZL18rocblas_rot_kernelIiLi512E19rocblas_complex_numIfEPS1_S2_PKS1_S4_EviT2_lllT3_lllT4_lT5_li.num_vgpr, 12
	.set _ZL18rocblas_rot_kernelIiLi512E19rocblas_complex_numIfEPS1_S2_PKS1_S4_EviT2_lllT3_lllT4_lT5_li.num_agpr, 0
	.set _ZL18rocblas_rot_kernelIiLi512E19rocblas_complex_numIfEPS1_S2_PKS1_S4_EviT2_lllT3_lllT4_lT5_li.numbered_sgpr, 24
	.set _ZL18rocblas_rot_kernelIiLi512E19rocblas_complex_numIfEPS1_S2_PKS1_S4_EviT2_lllT3_lllT4_lT5_li.num_named_barrier, 0
	.set _ZL18rocblas_rot_kernelIiLi512E19rocblas_complex_numIfEPS1_S2_PKS1_S4_EviT2_lllT3_lllT4_lT5_li.private_seg_size, 0
	.set _ZL18rocblas_rot_kernelIiLi512E19rocblas_complex_numIfEPS1_S2_PKS1_S4_EviT2_lllT3_lllT4_lT5_li.uses_vcc, 1
	.set _ZL18rocblas_rot_kernelIiLi512E19rocblas_complex_numIfEPS1_S2_PKS1_S4_EviT2_lllT3_lllT4_lT5_li.uses_flat_scratch, 0
	.set _ZL18rocblas_rot_kernelIiLi512E19rocblas_complex_numIfEPS1_S2_PKS1_S4_EviT2_lllT3_lllT4_lT5_li.has_dyn_sized_stack, 0
	.set _ZL18rocblas_rot_kernelIiLi512E19rocblas_complex_numIfEPS1_S2_PKS1_S4_EviT2_lllT3_lllT4_lT5_li.has_recursion, 0
	.set _ZL18rocblas_rot_kernelIiLi512E19rocblas_complex_numIfEPS1_S2_PKS1_S4_EviT2_lllT3_lllT4_lT5_li.has_indirect_call, 0
	.section	.AMDGPU.csdata,"",@progbits
; Kernel info:
; codeLenInByte = 424
; TotalNumSgprs: 28
; NumVgprs: 12
; ScratchSize: 0
; MemoryBound: 0
; FloatMode: 240
; IeeeMode: 1
; LDSByteSize: 0 bytes/workgroup (compile time only)
; SGPRBlocks: 3
; VGPRBlocks: 2
; NumSGPRsForWavesPerEU: 28
; NumVGPRsForWavesPerEU: 12
; Occupancy: 10
; WaveLimiterHint : 0
; COMPUTE_PGM_RSRC2:SCRATCH_EN: 0
; COMPUTE_PGM_RSRC2:USER_SGPR: 6
; COMPUTE_PGM_RSRC2:TRAP_HANDLER: 0
; COMPUTE_PGM_RSRC2:TGID_X_EN: 1
; COMPUTE_PGM_RSRC2:TGID_Y_EN: 0
; COMPUTE_PGM_RSRC2:TGID_Z_EN: 1
; COMPUTE_PGM_RSRC2:TIDIG_COMP_CNT: 0
	.section	.text._ZL18rocblas_rot_kernelIiLi512E19rocblas_complex_numIfEPS1_S2_S1_S1_EviT2_lllT3_lllT4_lT5_li,"axG",@progbits,_ZL18rocblas_rot_kernelIiLi512E19rocblas_complex_numIfEPS1_S2_S1_S1_EviT2_lllT3_lllT4_lT5_li,comdat
	.globl	_ZL18rocblas_rot_kernelIiLi512E19rocblas_complex_numIfEPS1_S2_S1_S1_EviT2_lllT3_lllT4_lT5_li ; -- Begin function _ZL18rocblas_rot_kernelIiLi512E19rocblas_complex_numIfEPS1_S2_S1_S1_EviT2_lllT3_lllT4_lT5_li
	.p2align	8
	.type	_ZL18rocblas_rot_kernelIiLi512E19rocblas_complex_numIfEPS1_S2_S1_S1_EviT2_lllT3_lllT4_lT5_li,@function
_ZL18rocblas_rot_kernelIiLi512E19rocblas_complex_numIfEPS1_S2_S1_S1_EviT2_lllT3_lllT4_lT5_li: ; @_ZL18rocblas_rot_kernelIiLi512E19rocblas_complex_numIfEPS1_S2_S1_S1_EviT2_lllT3_lllT4_lT5_li
; %bb.0:
	s_load_dword s0, s[4:5], 0x0
	s_load_dword s2, s[4:5], 0x7c
	v_mov_b32_e32 v1, 0
	s_waitcnt lgkmcnt(0)
	s_ashr_i32 s1, s0, 31
	s_and_b32 s2, s2, 0xffff
	s_mul_i32 s6, s6, s2
	v_add_u32_e32 v0, s6, v0
	v_cmp_gt_i64_e32 vcc, s[0:1], v[0:1]
	s_and_saveexec_b64 s[0:1], vcc
	s_cbranch_execz .LBB13_2
; %bb.1:
	s_load_dwordx16 s[8:23], s[4:5], 0x8
	s_waitcnt lgkmcnt(0)
	s_mul_i32 s1, s23, s7
	s_mul_hi_u32 s2, s22, s7
	s_mul_i32 s0, s22, s7
	s_add_i32 s1, s2, s1
	s_lshl_b64 s[0:1], s[0:1], 3
	s_add_u32 s2, s16, s0
	s_addc_u32 s6, s17, s1
	s_lshl_b64 s[0:1], s[18:19], 3
	s_mul_i32 s3, s15, s7
	s_add_u32 s15, s2, s0
	s_mul_hi_u32 s0, s14, s7
	s_addc_u32 s6, s6, s1
	s_add_i32 s1, s0, s3
	s_mul_i32 s0, s14, s7
	s_lshl_b64 s[0:1], s[0:1], 3
	s_add_u32 s7, s8, s0
	s_addc_u32 s8, s9, s1
	v_mad_u64_u32 v[1:2], s[0:1], s12, v0, 0
	v_mad_u64_u32 v[3:4], s[2:3], s20, v0, 0
	s_lshl_b64 s[0:1], s[10:11], 3
	s_add_u32 s0, s7, s0
	v_mad_u64_u32 v[5:6], s[2:3], s13, v0, v[2:3]
	v_mov_b32_e32 v2, v4
	v_mad_u64_u32 v[6:7], s[2:3], s21, v0, v[2:3]
	v_mov_b32_e32 v2, v5
	v_lshlrev_b64 v[0:1], 3, v[1:2]
	v_mov_b32_e32 v4, v6
	v_lshlrev_b64 v[2:3], 3, v[3:4]
	v_mov_b32_e32 v4, s6
	v_add_co_u32_e32 v2, vcc, s15, v2
	s_addc_u32 s1, s8, s1
	v_addc_co_u32_e32 v3, vcc, v4, v3, vcc
	v_mov_b32_e32 v6, s1
	v_add_co_u32_e32 v0, vcc, s0, v0
	global_load_dwordx2 v[4:5], v[2:3], off
	v_addc_co_u32_e32 v1, vcc, v6, v1, vcc
	global_load_dwordx2 v[6:7], v[0:1], off
	s_load_dwordx2 s[0:1], s[4:5], 0x58
	s_load_dword s2, s[4:5], 0x48
	s_waitcnt vmcnt(1) lgkmcnt(0)
	v_mul_f32_e32 v8, s1, v5
	v_fma_f32 v8, s0, v4, -v8
	v_mul_f32_e32 v9, s0, v5
	s_waitcnt vmcnt(0)
	v_mul_f32_e32 v10, s1, v7
	v_mul_f32_e32 v11, s1, v6
	v_fmac_f32_e32 v8, s2, v6
	v_fmac_f32_e32 v10, s0, v6
	v_fma_f32 v6, s0, v7, -v11
	v_fmac_f32_e32 v9, s1, v4
	v_fma_f32 v4, s2, v4, -v10
	v_fma_f32 v5, s2, v5, -v6
	v_fmac_f32_e32 v9, s2, v7
	global_store_dwordx2 v[2:3], v[4:5], off
	global_store_dwordx2 v[0:1], v[8:9], off
.LBB13_2:
	s_endpgm
	.section	.rodata,"a",@progbits
	.p2align	6, 0x0
	.amdhsa_kernel _ZL18rocblas_rot_kernelIiLi512E19rocblas_complex_numIfEPS1_S2_S1_S1_EviT2_lllT3_lllT4_lT5_li
		.amdhsa_group_segment_fixed_size 0
		.amdhsa_private_segment_fixed_size 0
		.amdhsa_kernarg_size 368
		.amdhsa_user_sgpr_count 6
		.amdhsa_user_sgpr_private_segment_buffer 1
		.amdhsa_user_sgpr_dispatch_ptr 0
		.amdhsa_user_sgpr_queue_ptr 0
		.amdhsa_user_sgpr_kernarg_segment_ptr 1
		.amdhsa_user_sgpr_dispatch_id 0
		.amdhsa_user_sgpr_flat_scratch_init 0
		.amdhsa_user_sgpr_private_segment_size 0
		.amdhsa_uses_dynamic_stack 0
		.amdhsa_system_sgpr_private_segment_wavefront_offset 0
		.amdhsa_system_sgpr_workgroup_id_x 1
		.amdhsa_system_sgpr_workgroup_id_y 0
		.amdhsa_system_sgpr_workgroup_id_z 1
		.amdhsa_system_sgpr_workgroup_info 0
		.amdhsa_system_vgpr_workitem_id 0
		.amdhsa_next_free_vgpr 12
		.amdhsa_next_free_sgpr 24
		.amdhsa_reserve_vcc 1
		.amdhsa_reserve_flat_scratch 0
		.amdhsa_float_round_mode_32 0
		.amdhsa_float_round_mode_16_64 0
		.amdhsa_float_denorm_mode_32 3
		.amdhsa_float_denorm_mode_16_64 3
		.amdhsa_dx10_clamp 1
		.amdhsa_ieee_mode 1
		.amdhsa_fp16_overflow 0
		.amdhsa_exception_fp_ieee_invalid_op 0
		.amdhsa_exception_fp_denorm_src 0
		.amdhsa_exception_fp_ieee_div_zero 0
		.amdhsa_exception_fp_ieee_overflow 0
		.amdhsa_exception_fp_ieee_underflow 0
		.amdhsa_exception_fp_ieee_inexact 0
		.amdhsa_exception_int_div_zero 0
	.end_amdhsa_kernel
	.section	.text._ZL18rocblas_rot_kernelIiLi512E19rocblas_complex_numIfEPS1_S2_S1_S1_EviT2_lllT3_lllT4_lT5_li,"axG",@progbits,_ZL18rocblas_rot_kernelIiLi512E19rocblas_complex_numIfEPS1_S2_S1_S1_EviT2_lllT3_lllT4_lT5_li,comdat
.Lfunc_end13:
	.size	_ZL18rocblas_rot_kernelIiLi512E19rocblas_complex_numIfEPS1_S2_S1_S1_EviT2_lllT3_lllT4_lT5_li, .Lfunc_end13-_ZL18rocblas_rot_kernelIiLi512E19rocblas_complex_numIfEPS1_S2_S1_S1_EviT2_lllT3_lllT4_lT5_li
                                        ; -- End function
	.set _ZL18rocblas_rot_kernelIiLi512E19rocblas_complex_numIfEPS1_S2_S1_S1_EviT2_lllT3_lllT4_lT5_li.num_vgpr, 12
	.set _ZL18rocblas_rot_kernelIiLi512E19rocblas_complex_numIfEPS1_S2_S1_S1_EviT2_lllT3_lllT4_lT5_li.num_agpr, 0
	.set _ZL18rocblas_rot_kernelIiLi512E19rocblas_complex_numIfEPS1_S2_S1_S1_EviT2_lllT3_lllT4_lT5_li.numbered_sgpr, 24
	.set _ZL18rocblas_rot_kernelIiLi512E19rocblas_complex_numIfEPS1_S2_S1_S1_EviT2_lllT3_lllT4_lT5_li.num_named_barrier, 0
	.set _ZL18rocblas_rot_kernelIiLi512E19rocblas_complex_numIfEPS1_S2_S1_S1_EviT2_lllT3_lllT4_lT5_li.private_seg_size, 0
	.set _ZL18rocblas_rot_kernelIiLi512E19rocblas_complex_numIfEPS1_S2_S1_S1_EviT2_lllT3_lllT4_lT5_li.uses_vcc, 1
	.set _ZL18rocblas_rot_kernelIiLi512E19rocblas_complex_numIfEPS1_S2_S1_S1_EviT2_lllT3_lllT4_lT5_li.uses_flat_scratch, 0
	.set _ZL18rocblas_rot_kernelIiLi512E19rocblas_complex_numIfEPS1_S2_S1_S1_EviT2_lllT3_lllT4_lT5_li.has_dyn_sized_stack, 0
	.set _ZL18rocblas_rot_kernelIiLi512E19rocblas_complex_numIfEPS1_S2_S1_S1_EviT2_lllT3_lllT4_lT5_li.has_recursion, 0
	.set _ZL18rocblas_rot_kernelIiLi512E19rocblas_complex_numIfEPS1_S2_S1_S1_EviT2_lllT3_lllT4_lT5_li.has_indirect_call, 0
	.section	.AMDGPU.csdata,"",@progbits
; Kernel info:
; codeLenInByte = 356
; TotalNumSgprs: 28
; NumVgprs: 12
; ScratchSize: 0
; MemoryBound: 0
; FloatMode: 240
; IeeeMode: 1
; LDSByteSize: 0 bytes/workgroup (compile time only)
; SGPRBlocks: 3
; VGPRBlocks: 2
; NumSGPRsForWavesPerEU: 28
; NumVGPRsForWavesPerEU: 12
; Occupancy: 10
; WaveLimiterHint : 1
; COMPUTE_PGM_RSRC2:SCRATCH_EN: 0
; COMPUTE_PGM_RSRC2:USER_SGPR: 6
; COMPUTE_PGM_RSRC2:TRAP_HANDLER: 0
; COMPUTE_PGM_RSRC2:TGID_X_EN: 1
; COMPUTE_PGM_RSRC2:TGID_Y_EN: 0
; COMPUTE_PGM_RSRC2:TGID_Z_EN: 1
; COMPUTE_PGM_RSRC2:TIDIG_COMP_CNT: 0
	.section	.text._ZL18rocblas_rot_kernelIiLi512E19rocblas_complex_numIdEPS1_S2_PKdS4_EviT2_lllT3_lllT4_lT5_li,"axG",@progbits,_ZL18rocblas_rot_kernelIiLi512E19rocblas_complex_numIdEPS1_S2_PKdS4_EviT2_lllT3_lllT4_lT5_li,comdat
	.globl	_ZL18rocblas_rot_kernelIiLi512E19rocblas_complex_numIdEPS1_S2_PKdS4_EviT2_lllT3_lllT4_lT5_li ; -- Begin function _ZL18rocblas_rot_kernelIiLi512E19rocblas_complex_numIdEPS1_S2_PKdS4_EviT2_lllT3_lllT4_lT5_li
	.p2align	8
	.type	_ZL18rocblas_rot_kernelIiLi512E19rocblas_complex_numIdEPS1_S2_PKdS4_EviT2_lllT3_lllT4_lT5_li,@function
_ZL18rocblas_rot_kernelIiLi512E19rocblas_complex_numIdEPS1_S2_PKdS4_EviT2_lllT3_lllT4_lT5_li: ; @_ZL18rocblas_rot_kernelIiLi512E19rocblas_complex_numIdEPS1_S2_PKdS4_EviT2_lllT3_lllT4_lT5_li
; %bb.0:
	s_load_dword s0, s[4:5], 0x0
	s_load_dword s2, s[4:5], 0x7c
	v_mov_b32_e32 v1, 0
	s_waitcnt lgkmcnt(0)
	s_ashr_i32 s1, s0, 31
	s_and_b32 s2, s2, 0xffff
	s_mul_i32 s6, s6, s2
	v_add_u32_e32 v0, s6, v0
	v_cmp_gt_i64_e32 vcc, s[0:1], v[0:1]
	s_and_saveexec_b64 s[0:1], vcc
	s_cbranch_execz .LBB14_2
; %bb.1:
	s_load_dwordx16 s[8:23], s[4:5], 0x8
	s_waitcnt lgkmcnt(0)
	s_mul_i32 s1, s23, s7
	s_mul_hi_u32 s2, s22, s7
	s_mul_i32 s0, s22, s7
	s_add_i32 s1, s2, s1
	s_lshl_b64 s[0:1], s[0:1], 4
	s_add_u32 s2, s16, s0
	s_addc_u32 s6, s17, s1
	s_lshl_b64 s[0:1], s[18:19], 4
	s_mul_i32 s3, s15, s7
	s_add_u32 s15, s2, s0
	s_mul_hi_u32 s0, s14, s7
	s_addc_u32 s6, s6, s1
	s_add_i32 s1, s0, s3
	s_mul_i32 s0, s14, s7
	s_lshl_b64 s[0:1], s[0:1], 4
	s_add_u32 s8, s8, s0
	s_addc_u32 s9, s9, s1
	v_mad_u64_u32 v[1:2], s[0:1], s12, v0, 0
	v_mad_u64_u32 v[4:5], s[2:3], s20, v0, 0
	;; [unrolled: 1-line block ×3, first 2 shown]
	s_lshl_b64 s[0:1], s[10:11], 4
	v_mov_b32_e32 v3, v5
	v_mad_u64_u32 v[5:6], s[2:3], s21, v0, v[3:4]
	s_add_u32 s0, s8, s0
	v_lshlrev_b64 v[0:1], 4, v[1:2]
	s_addc_u32 s1, s9, s1
	v_mov_b32_e32 v2, s1
	v_add_co_u32_e32 v12, vcc, s0, v0
	v_addc_co_u32_e32 v13, vcc, v2, v1, vcc
	global_load_dwordx4 v[0:3], v[12:13], off
	v_lshlrev_b64 v[4:5], 4, v[4:5]
	v_mov_b32_e32 v6, s6
	v_add_co_u32_e32 v14, vcc, s15, v4
	v_addc_co_u32_e32 v15, vcc, v6, v5, vcc
	global_load_dwordx4 v[4:7], v[14:15], off
	s_load_dwordx8 s[8:15], s[4:5], 0x48
	s_waitcnt lgkmcnt(0)
	s_mul_i32 s1, s15, s7
	s_mul_hi_u32 s2, s14, s7
	s_mul_i32 s0, s14, s7
	s_add_i32 s1, s2, s1
	s_lshl_b64 s[0:1], s[0:1], 3
	s_add_u32 s0, s12, s0
	s_addc_u32 s1, s13, s1
	s_load_dwordx2 s[0:1], s[0:1], 0x0
	s_mul_i32 s3, s11, s7
	s_mul_hi_u32 s4, s10, s7
	s_mul_i32 s2, s10, s7
	s_add_i32 s3, s4, s3
	s_lshl_b64 s[2:3], s[2:3], 3
	s_add_u32 s2, s8, s2
	s_addc_u32 s3, s9, s3
	s_load_dwordx2 s[2:3], s[2:3], 0x0
	s_waitcnt vmcnt(1) lgkmcnt(0)
	v_mul_f64 v[8:9], s[0:1], v[0:1]
	v_mul_f64 v[10:11], s[0:1], v[2:3]
	s_waitcnt vmcnt(0)
	v_mul_f64 v[16:17], s[0:1], v[4:5]
	v_fma_f64 v[8:9], s[2:3], v[4:5], -v[8:9]
	v_mul_f64 v[4:5], s[0:1], v[6:7]
	v_fma_f64 v[10:11], s[2:3], v[6:7], -v[10:11]
	v_fma_f64 v[0:1], s[2:3], v[0:1], v[16:17]
	v_fma_f64 v[2:3], s[2:3], v[2:3], v[4:5]
	global_store_dwordx4 v[14:15], v[8:11], off
	global_store_dwordx4 v[12:13], v[0:3], off
.LBB14_2:
	s_endpgm
	.section	.rodata,"a",@progbits
	.p2align	6, 0x0
	.amdhsa_kernel _ZL18rocblas_rot_kernelIiLi512E19rocblas_complex_numIdEPS1_S2_PKdS4_EviT2_lllT3_lllT4_lT5_li
		.amdhsa_group_segment_fixed_size 0
		.amdhsa_private_segment_fixed_size 0
		.amdhsa_kernarg_size 368
		.amdhsa_user_sgpr_count 6
		.amdhsa_user_sgpr_private_segment_buffer 1
		.amdhsa_user_sgpr_dispatch_ptr 0
		.amdhsa_user_sgpr_queue_ptr 0
		.amdhsa_user_sgpr_kernarg_segment_ptr 1
		.amdhsa_user_sgpr_dispatch_id 0
		.amdhsa_user_sgpr_flat_scratch_init 0
		.amdhsa_user_sgpr_private_segment_size 0
		.amdhsa_uses_dynamic_stack 0
		.amdhsa_system_sgpr_private_segment_wavefront_offset 0
		.amdhsa_system_sgpr_workgroup_id_x 1
		.amdhsa_system_sgpr_workgroup_id_y 0
		.amdhsa_system_sgpr_workgroup_id_z 1
		.amdhsa_system_sgpr_workgroup_info 0
		.amdhsa_system_vgpr_workitem_id 0
		.amdhsa_next_free_vgpr 18
		.amdhsa_next_free_sgpr 24
		.amdhsa_reserve_vcc 1
		.amdhsa_reserve_flat_scratch 0
		.amdhsa_float_round_mode_32 0
		.amdhsa_float_round_mode_16_64 0
		.amdhsa_float_denorm_mode_32 3
		.amdhsa_float_denorm_mode_16_64 3
		.amdhsa_dx10_clamp 1
		.amdhsa_ieee_mode 1
		.amdhsa_fp16_overflow 0
		.amdhsa_exception_fp_ieee_invalid_op 0
		.amdhsa_exception_fp_denorm_src 0
		.amdhsa_exception_fp_ieee_div_zero 0
		.amdhsa_exception_fp_ieee_overflow 0
		.amdhsa_exception_fp_ieee_underflow 0
		.amdhsa_exception_fp_ieee_inexact 0
		.amdhsa_exception_int_div_zero 0
	.end_amdhsa_kernel
	.section	.text._ZL18rocblas_rot_kernelIiLi512E19rocblas_complex_numIdEPS1_S2_PKdS4_EviT2_lllT3_lllT4_lT5_li,"axG",@progbits,_ZL18rocblas_rot_kernelIiLi512E19rocblas_complex_numIdEPS1_S2_PKdS4_EviT2_lllT3_lllT4_lT5_li,comdat
.Lfunc_end14:
	.size	_ZL18rocblas_rot_kernelIiLi512E19rocblas_complex_numIdEPS1_S2_PKdS4_EviT2_lllT3_lllT4_lT5_li, .Lfunc_end14-_ZL18rocblas_rot_kernelIiLi512E19rocblas_complex_numIdEPS1_S2_PKdS4_EviT2_lllT3_lllT4_lT5_li
                                        ; -- End function
	.set _ZL18rocblas_rot_kernelIiLi512E19rocblas_complex_numIdEPS1_S2_PKdS4_EviT2_lllT3_lllT4_lT5_li.num_vgpr, 18
	.set _ZL18rocblas_rot_kernelIiLi512E19rocblas_complex_numIdEPS1_S2_PKdS4_EviT2_lllT3_lllT4_lT5_li.num_agpr, 0
	.set _ZL18rocblas_rot_kernelIiLi512E19rocblas_complex_numIdEPS1_S2_PKdS4_EviT2_lllT3_lllT4_lT5_li.numbered_sgpr, 24
	.set _ZL18rocblas_rot_kernelIiLi512E19rocblas_complex_numIdEPS1_S2_PKdS4_EviT2_lllT3_lllT4_lT5_li.num_named_barrier, 0
	.set _ZL18rocblas_rot_kernelIiLi512E19rocblas_complex_numIdEPS1_S2_PKdS4_EviT2_lllT3_lllT4_lT5_li.private_seg_size, 0
	.set _ZL18rocblas_rot_kernelIiLi512E19rocblas_complex_numIdEPS1_S2_PKdS4_EviT2_lllT3_lllT4_lT5_li.uses_vcc, 1
	.set _ZL18rocblas_rot_kernelIiLi512E19rocblas_complex_numIdEPS1_S2_PKdS4_EviT2_lllT3_lllT4_lT5_li.uses_flat_scratch, 0
	.set _ZL18rocblas_rot_kernelIiLi512E19rocblas_complex_numIdEPS1_S2_PKdS4_EviT2_lllT3_lllT4_lT5_li.has_dyn_sized_stack, 0
	.set _ZL18rocblas_rot_kernelIiLi512E19rocblas_complex_numIdEPS1_S2_PKdS4_EviT2_lllT3_lllT4_lT5_li.has_recursion, 0
	.set _ZL18rocblas_rot_kernelIiLi512E19rocblas_complex_numIdEPS1_S2_PKdS4_EviT2_lllT3_lllT4_lT5_li.has_indirect_call, 0
	.section	.AMDGPU.csdata,"",@progbits
; Kernel info:
; codeLenInByte = 416
; TotalNumSgprs: 28
; NumVgprs: 18
; ScratchSize: 0
; MemoryBound: 0
; FloatMode: 240
; IeeeMode: 1
; LDSByteSize: 0 bytes/workgroup (compile time only)
; SGPRBlocks: 3
; VGPRBlocks: 4
; NumSGPRsForWavesPerEU: 28
; NumVGPRsForWavesPerEU: 18
; Occupancy: 10
; WaveLimiterHint : 0
; COMPUTE_PGM_RSRC2:SCRATCH_EN: 0
; COMPUTE_PGM_RSRC2:USER_SGPR: 6
; COMPUTE_PGM_RSRC2:TRAP_HANDLER: 0
; COMPUTE_PGM_RSRC2:TGID_X_EN: 1
; COMPUTE_PGM_RSRC2:TGID_Y_EN: 0
; COMPUTE_PGM_RSRC2:TGID_Z_EN: 1
; COMPUTE_PGM_RSRC2:TIDIG_COMP_CNT: 0
	.section	.text._ZL18rocblas_rot_kernelIiLi512E19rocblas_complex_numIdEPS1_S2_ddEviT2_lllT3_lllT4_lT5_li,"axG",@progbits,_ZL18rocblas_rot_kernelIiLi512E19rocblas_complex_numIdEPS1_S2_ddEviT2_lllT3_lllT4_lT5_li,comdat
	.globl	_ZL18rocblas_rot_kernelIiLi512E19rocblas_complex_numIdEPS1_S2_ddEviT2_lllT3_lllT4_lT5_li ; -- Begin function _ZL18rocblas_rot_kernelIiLi512E19rocblas_complex_numIdEPS1_S2_ddEviT2_lllT3_lllT4_lT5_li
	.p2align	8
	.type	_ZL18rocblas_rot_kernelIiLi512E19rocblas_complex_numIdEPS1_S2_ddEviT2_lllT3_lllT4_lT5_li,@function
_ZL18rocblas_rot_kernelIiLi512E19rocblas_complex_numIdEPS1_S2_ddEviT2_lllT3_lllT4_lT5_li: ; @_ZL18rocblas_rot_kernelIiLi512E19rocblas_complex_numIdEPS1_S2_ddEviT2_lllT3_lllT4_lT5_li
; %bb.0:
	s_load_dword s0, s[4:5], 0x0
	s_load_dword s2, s[4:5], 0x7c
	v_mov_b32_e32 v1, 0
	s_waitcnt lgkmcnt(0)
	s_ashr_i32 s1, s0, 31
	s_and_b32 s2, s2, 0xffff
	s_mul_i32 s6, s6, s2
	v_add_u32_e32 v0, s6, v0
	v_cmp_gt_i64_e32 vcc, s[0:1], v[0:1]
	s_and_saveexec_b64 s[0:1], vcc
	s_cbranch_execz .LBB15_2
; %bb.1:
	s_load_dwordx16 s[8:23], s[4:5], 0x8
	s_waitcnt lgkmcnt(0)
	s_mul_i32 s1, s23, s7
	s_mul_hi_u32 s2, s22, s7
	s_mul_i32 s0, s22, s7
	s_add_i32 s1, s2, s1
	s_lshl_b64 s[0:1], s[0:1], 4
	s_add_u32 s2, s16, s0
	s_addc_u32 s6, s17, s1
	s_lshl_b64 s[0:1], s[18:19], 4
	s_mul_i32 s3, s15, s7
	s_add_u32 s15, s2, s0
	s_mul_hi_u32 s0, s14, s7
	s_addc_u32 s6, s6, s1
	s_add_i32 s1, s0, s3
	s_mul_i32 s0, s14, s7
	s_lshl_b64 s[0:1], s[0:1], 4
	s_add_u32 s7, s8, s0
	s_addc_u32 s8, s9, s1
	v_mad_u64_u32 v[1:2], s[0:1], s12, v0, 0
	v_mad_u64_u32 v[4:5], s[2:3], s20, v0, 0
	;; [unrolled: 1-line block ×3, first 2 shown]
	s_lshl_b64 s[0:1], s[10:11], 4
	v_mov_b32_e32 v3, v5
	v_mad_u64_u32 v[5:6], s[2:3], s21, v0, v[3:4]
	s_add_u32 s0, s7, s0
	v_lshlrev_b64 v[0:1], 4, v[1:2]
	s_addc_u32 s1, s8, s1
	v_mov_b32_e32 v2, s1
	v_add_co_u32_e32 v12, vcc, s0, v0
	v_addc_co_u32_e32 v13, vcc, v2, v1, vcc
	global_load_dwordx4 v[0:3], v[12:13], off
	v_lshlrev_b64 v[4:5], 4, v[4:5]
	v_mov_b32_e32 v6, s6
	v_add_co_u32_e32 v14, vcc, s15, v4
	v_addc_co_u32_e32 v15, vcc, v6, v5, vcc
	global_load_dwordx4 v[4:7], v[14:15], off
	s_load_dwordx2 s[0:1], s[4:5], 0x58
	s_load_dwordx2 s[2:3], s[4:5], 0x48
	s_waitcnt vmcnt(1) lgkmcnt(0)
	v_mul_f64 v[8:9], s[0:1], v[0:1]
	v_mul_f64 v[10:11], s[0:1], v[2:3]
	s_waitcnt vmcnt(0)
	v_mul_f64 v[16:17], s[0:1], v[4:5]
	v_fma_f64 v[8:9], s[2:3], v[4:5], -v[8:9]
	v_mul_f64 v[4:5], s[0:1], v[6:7]
	v_fma_f64 v[10:11], s[2:3], v[6:7], -v[10:11]
	v_fma_f64 v[0:1], s[2:3], v[0:1], v[16:17]
	v_fma_f64 v[2:3], s[2:3], v[2:3], v[4:5]
	global_store_dwordx4 v[14:15], v[8:11], off
	global_store_dwordx4 v[12:13], v[0:3], off
.LBB15_2:
	s_endpgm
	.section	.rodata,"a",@progbits
	.p2align	6, 0x0
	.amdhsa_kernel _ZL18rocblas_rot_kernelIiLi512E19rocblas_complex_numIdEPS1_S2_ddEviT2_lllT3_lllT4_lT5_li
		.amdhsa_group_segment_fixed_size 0
		.amdhsa_private_segment_fixed_size 0
		.amdhsa_kernarg_size 368
		.amdhsa_user_sgpr_count 6
		.amdhsa_user_sgpr_private_segment_buffer 1
		.amdhsa_user_sgpr_dispatch_ptr 0
		.amdhsa_user_sgpr_queue_ptr 0
		.amdhsa_user_sgpr_kernarg_segment_ptr 1
		.amdhsa_user_sgpr_dispatch_id 0
		.amdhsa_user_sgpr_flat_scratch_init 0
		.amdhsa_user_sgpr_private_segment_size 0
		.amdhsa_uses_dynamic_stack 0
		.amdhsa_system_sgpr_private_segment_wavefront_offset 0
		.amdhsa_system_sgpr_workgroup_id_x 1
		.amdhsa_system_sgpr_workgroup_id_y 0
		.amdhsa_system_sgpr_workgroup_id_z 1
		.amdhsa_system_sgpr_workgroup_info 0
		.amdhsa_system_vgpr_workitem_id 0
		.amdhsa_next_free_vgpr 18
		.amdhsa_next_free_sgpr 24
		.amdhsa_reserve_vcc 1
		.amdhsa_reserve_flat_scratch 0
		.amdhsa_float_round_mode_32 0
		.amdhsa_float_round_mode_16_64 0
		.amdhsa_float_denorm_mode_32 3
		.amdhsa_float_denorm_mode_16_64 3
		.amdhsa_dx10_clamp 1
		.amdhsa_ieee_mode 1
		.amdhsa_fp16_overflow 0
		.amdhsa_exception_fp_ieee_invalid_op 0
		.amdhsa_exception_fp_denorm_src 0
		.amdhsa_exception_fp_ieee_div_zero 0
		.amdhsa_exception_fp_ieee_overflow 0
		.amdhsa_exception_fp_ieee_underflow 0
		.amdhsa_exception_fp_ieee_inexact 0
		.amdhsa_exception_int_div_zero 0
	.end_amdhsa_kernel
	.section	.text._ZL18rocblas_rot_kernelIiLi512E19rocblas_complex_numIdEPS1_S2_ddEviT2_lllT3_lllT4_lT5_li,"axG",@progbits,_ZL18rocblas_rot_kernelIiLi512E19rocblas_complex_numIdEPS1_S2_ddEviT2_lllT3_lllT4_lT5_li,comdat
.Lfunc_end15:
	.size	_ZL18rocblas_rot_kernelIiLi512E19rocblas_complex_numIdEPS1_S2_ddEviT2_lllT3_lllT4_lT5_li, .Lfunc_end15-_ZL18rocblas_rot_kernelIiLi512E19rocblas_complex_numIdEPS1_S2_ddEviT2_lllT3_lllT4_lT5_li
                                        ; -- End function
	.set _ZL18rocblas_rot_kernelIiLi512E19rocblas_complex_numIdEPS1_S2_ddEviT2_lllT3_lllT4_lT5_li.num_vgpr, 18
	.set _ZL18rocblas_rot_kernelIiLi512E19rocblas_complex_numIdEPS1_S2_ddEviT2_lllT3_lllT4_lT5_li.num_agpr, 0
	.set _ZL18rocblas_rot_kernelIiLi512E19rocblas_complex_numIdEPS1_S2_ddEviT2_lllT3_lllT4_lT5_li.numbered_sgpr, 24
	.set _ZL18rocblas_rot_kernelIiLi512E19rocblas_complex_numIdEPS1_S2_ddEviT2_lllT3_lllT4_lT5_li.num_named_barrier, 0
	.set _ZL18rocblas_rot_kernelIiLi512E19rocblas_complex_numIdEPS1_S2_ddEviT2_lllT3_lllT4_lT5_li.private_seg_size, 0
	.set _ZL18rocblas_rot_kernelIiLi512E19rocblas_complex_numIdEPS1_S2_ddEviT2_lllT3_lllT4_lT5_li.uses_vcc, 1
	.set _ZL18rocblas_rot_kernelIiLi512E19rocblas_complex_numIdEPS1_S2_ddEviT2_lllT3_lllT4_lT5_li.uses_flat_scratch, 0
	.set _ZL18rocblas_rot_kernelIiLi512E19rocblas_complex_numIdEPS1_S2_ddEviT2_lllT3_lllT4_lT5_li.has_dyn_sized_stack, 0
	.set _ZL18rocblas_rot_kernelIiLi512E19rocblas_complex_numIdEPS1_S2_ddEviT2_lllT3_lllT4_lT5_li.has_recursion, 0
	.set _ZL18rocblas_rot_kernelIiLi512E19rocblas_complex_numIdEPS1_S2_ddEviT2_lllT3_lllT4_lT5_li.has_indirect_call, 0
	.section	.AMDGPU.csdata,"",@progbits
; Kernel info:
; codeLenInByte = 348
; TotalNumSgprs: 28
; NumVgprs: 18
; ScratchSize: 0
; MemoryBound: 0
; FloatMode: 240
; IeeeMode: 1
; LDSByteSize: 0 bytes/workgroup (compile time only)
; SGPRBlocks: 3
; VGPRBlocks: 4
; NumSGPRsForWavesPerEU: 28
; NumVGPRsForWavesPerEU: 18
; Occupancy: 10
; WaveLimiterHint : 0
; COMPUTE_PGM_RSRC2:SCRATCH_EN: 0
; COMPUTE_PGM_RSRC2:USER_SGPR: 6
; COMPUTE_PGM_RSRC2:TRAP_HANDLER: 0
; COMPUTE_PGM_RSRC2:TGID_X_EN: 1
; COMPUTE_PGM_RSRC2:TGID_Y_EN: 0
; COMPUTE_PGM_RSRC2:TGID_Z_EN: 1
; COMPUTE_PGM_RSRC2:TIDIG_COMP_CNT: 0
	.section	.text._ZL18rocblas_rot_kernelIiLi512E19rocblas_complex_numIdEPS1_S2_PKdPKS1_EviT2_lllT3_lllT4_lT5_li,"axG",@progbits,_ZL18rocblas_rot_kernelIiLi512E19rocblas_complex_numIdEPS1_S2_PKdPKS1_EviT2_lllT3_lllT4_lT5_li,comdat
	.globl	_ZL18rocblas_rot_kernelIiLi512E19rocblas_complex_numIdEPS1_S2_PKdPKS1_EviT2_lllT3_lllT4_lT5_li ; -- Begin function _ZL18rocblas_rot_kernelIiLi512E19rocblas_complex_numIdEPS1_S2_PKdPKS1_EviT2_lllT3_lllT4_lT5_li
	.p2align	8
	.type	_ZL18rocblas_rot_kernelIiLi512E19rocblas_complex_numIdEPS1_S2_PKdPKS1_EviT2_lllT3_lllT4_lT5_li,@function
_ZL18rocblas_rot_kernelIiLi512E19rocblas_complex_numIdEPS1_S2_PKdPKS1_EviT2_lllT3_lllT4_lT5_li: ; @_ZL18rocblas_rot_kernelIiLi512E19rocblas_complex_numIdEPS1_S2_PKdPKS1_EviT2_lllT3_lllT4_lT5_li
; %bb.0:
	s_load_dword s0, s[4:5], 0x0
	s_load_dword s2, s[4:5], 0x7c
	v_mov_b32_e32 v1, 0
	s_waitcnt lgkmcnt(0)
	s_ashr_i32 s1, s0, 31
	s_and_b32 s2, s2, 0xffff
	s_mul_i32 s6, s6, s2
	v_add_u32_e32 v0, s6, v0
	v_cmp_gt_i64_e32 vcc, s[0:1], v[0:1]
	s_and_saveexec_b64 s[0:1], vcc
	s_cbranch_execz .LBB16_2
; %bb.1:
	s_load_dwordx16 s[8:23], s[4:5], 0x8
	s_waitcnt lgkmcnt(0)
	s_mul_i32 s1, s23, s7
	s_mul_hi_u32 s2, s22, s7
	s_mul_i32 s0, s22, s7
	s_add_i32 s1, s2, s1
	s_lshl_b64 s[0:1], s[0:1], 4
	s_add_u32 s2, s16, s0
	s_addc_u32 s6, s17, s1
	s_lshl_b64 s[0:1], s[18:19], 4
	s_mul_i32 s3, s15, s7
	s_add_u32 s15, s2, s0
	s_mul_hi_u32 s0, s14, s7
	s_addc_u32 s6, s6, s1
	s_add_i32 s1, s0, s3
	v_mad_u64_u32 v[1:2], s[2:3], s12, v0, 0
	s_mul_i32 s0, s14, s7
	s_lshl_b64 s[0:1], s[0:1], 4
	s_add_u32 s2, s8, s0
	s_addc_u32 s3, s9, s1
	v_mad_u64_u32 v[2:3], s[0:1], s13, v0, v[2:3]
	s_lshl_b64 s[0:1], s[10:11], 4
	s_add_u32 s2, s2, s0
	v_lshlrev_b64 v[1:2], 4, v[1:2]
	s_addc_u32 s3, s3, s1
	v_mov_b32_e32 v3, s3
	v_add_co_u32_e32 v13, vcc, s2, v1
	v_addc_co_u32_e32 v14, vcc, v3, v2, vcc
	global_load_dwordx4 v[1:4], v[13:14], off
	v_mad_u64_u32 v[5:6], s[0:1], s20, v0, 0
	v_mad_u64_u32 v[6:7], s[0:1], s21, v0, v[6:7]
	v_mov_b32_e32 v0, s6
	v_lshlrev_b64 v[5:6], 4, v[5:6]
	v_add_co_u32_e32 v15, vcc, s15, v5
	v_addc_co_u32_e32 v16, vcc, v0, v6, vcc
	global_load_dwordx4 v[5:8], v[15:16], off
	s_load_dwordx8 s[8:15], s[4:5], 0x48
	s_waitcnt lgkmcnt(0)
	s_mul_i32 s1, s15, s7
	s_mul_hi_u32 s2, s14, s7
	s_mul_i32 s0, s14, s7
	s_add_i32 s1, s2, s1
	s_lshl_b64 s[0:1], s[0:1], 4
	s_add_u32 s4, s12, s0
	s_addc_u32 s5, s13, s1
	s_load_dwordx4 s[0:3], s[4:5], 0x0
	s_mul_i32 s5, s11, s7
	s_mul_hi_u32 s6, s10, s7
	s_mul_i32 s4, s10, s7
	s_add_i32 s5, s6, s5
	s_lshl_b64 s[4:5], s[4:5], 3
	s_add_u32 s4, s8, s4
	s_addc_u32 s5, s9, s5
	s_load_dwordx2 s[4:5], s[4:5], 0x0
	s_waitcnt vmcnt(1) lgkmcnt(0)
	v_mul_f64 v[11:12], s[2:3], v[1:2]
	v_mul_f64 v[9:10], s[2:3], v[3:4]
	v_fma_f64 v[11:12], s[0:1], v[3:4], -v[11:12]
	v_fma_f64 v[9:10], s[0:1], v[1:2], v[9:10]
	s_waitcnt vmcnt(0)
	v_mul_f64 v[17:18], s[2:3], v[7:8]
	v_fma_f64 v[11:12], s[4:5], v[7:8], -v[11:12]
	v_mul_f64 v[7:8], s[0:1], v[7:8]
	v_fma_f64 v[9:10], s[4:5], v[5:6], -v[9:10]
	v_fma_f64 v[17:18], s[0:1], v[5:6], -v[17:18]
	v_fma_f64 v[5:6], s[2:3], v[5:6], v[7:8]
	v_fma_f64 v[0:1], s[4:5], v[1:2], v[17:18]
	;; [unrolled: 1-line block ×3, first 2 shown]
	global_store_dwordx4 v[15:16], v[9:12], off
	global_store_dwordx4 v[13:14], v[0:3], off
.LBB16_2:
	s_endpgm
	.section	.rodata,"a",@progbits
	.p2align	6, 0x0
	.amdhsa_kernel _ZL18rocblas_rot_kernelIiLi512E19rocblas_complex_numIdEPS1_S2_PKdPKS1_EviT2_lllT3_lllT4_lT5_li
		.amdhsa_group_segment_fixed_size 0
		.amdhsa_private_segment_fixed_size 0
		.amdhsa_kernarg_size 368
		.amdhsa_user_sgpr_count 6
		.amdhsa_user_sgpr_private_segment_buffer 1
		.amdhsa_user_sgpr_dispatch_ptr 0
		.amdhsa_user_sgpr_queue_ptr 0
		.amdhsa_user_sgpr_kernarg_segment_ptr 1
		.amdhsa_user_sgpr_dispatch_id 0
		.amdhsa_user_sgpr_flat_scratch_init 0
		.amdhsa_user_sgpr_private_segment_size 0
		.amdhsa_uses_dynamic_stack 0
		.amdhsa_system_sgpr_private_segment_wavefront_offset 0
		.amdhsa_system_sgpr_workgroup_id_x 1
		.amdhsa_system_sgpr_workgroup_id_y 0
		.amdhsa_system_sgpr_workgroup_id_z 1
		.amdhsa_system_sgpr_workgroup_info 0
		.amdhsa_system_vgpr_workitem_id 0
		.amdhsa_next_free_vgpr 19
		.amdhsa_next_free_sgpr 24
		.amdhsa_reserve_vcc 1
		.amdhsa_reserve_flat_scratch 0
		.amdhsa_float_round_mode_32 0
		.amdhsa_float_round_mode_16_64 0
		.amdhsa_float_denorm_mode_32 3
		.amdhsa_float_denorm_mode_16_64 3
		.amdhsa_dx10_clamp 1
		.amdhsa_ieee_mode 1
		.amdhsa_fp16_overflow 0
		.amdhsa_exception_fp_ieee_invalid_op 0
		.amdhsa_exception_fp_denorm_src 0
		.amdhsa_exception_fp_ieee_div_zero 0
		.amdhsa_exception_fp_ieee_overflow 0
		.amdhsa_exception_fp_ieee_underflow 0
		.amdhsa_exception_fp_ieee_inexact 0
		.amdhsa_exception_int_div_zero 0
	.end_amdhsa_kernel
	.section	.text._ZL18rocblas_rot_kernelIiLi512E19rocblas_complex_numIdEPS1_S2_PKdPKS1_EviT2_lllT3_lllT4_lT5_li,"axG",@progbits,_ZL18rocblas_rot_kernelIiLi512E19rocblas_complex_numIdEPS1_S2_PKdPKS1_EviT2_lllT3_lllT4_lT5_li,comdat
.Lfunc_end16:
	.size	_ZL18rocblas_rot_kernelIiLi512E19rocblas_complex_numIdEPS1_S2_PKdPKS1_EviT2_lllT3_lllT4_lT5_li, .Lfunc_end16-_ZL18rocblas_rot_kernelIiLi512E19rocblas_complex_numIdEPS1_S2_PKdPKS1_EviT2_lllT3_lllT4_lT5_li
                                        ; -- End function
	.set _ZL18rocblas_rot_kernelIiLi512E19rocblas_complex_numIdEPS1_S2_PKdPKS1_EviT2_lllT3_lllT4_lT5_li.num_vgpr, 19
	.set _ZL18rocblas_rot_kernelIiLi512E19rocblas_complex_numIdEPS1_S2_PKdPKS1_EviT2_lllT3_lllT4_lT5_li.num_agpr, 0
	.set _ZL18rocblas_rot_kernelIiLi512E19rocblas_complex_numIdEPS1_S2_PKdPKS1_EviT2_lllT3_lllT4_lT5_li.numbered_sgpr, 24
	.set _ZL18rocblas_rot_kernelIiLi512E19rocblas_complex_numIdEPS1_S2_PKdPKS1_EviT2_lllT3_lllT4_lT5_li.num_named_barrier, 0
	.set _ZL18rocblas_rot_kernelIiLi512E19rocblas_complex_numIdEPS1_S2_PKdPKS1_EviT2_lllT3_lllT4_lT5_li.private_seg_size, 0
	.set _ZL18rocblas_rot_kernelIiLi512E19rocblas_complex_numIdEPS1_S2_PKdPKS1_EviT2_lllT3_lllT4_lT5_li.uses_vcc, 1
	.set _ZL18rocblas_rot_kernelIiLi512E19rocblas_complex_numIdEPS1_S2_PKdPKS1_EviT2_lllT3_lllT4_lT5_li.uses_flat_scratch, 0
	.set _ZL18rocblas_rot_kernelIiLi512E19rocblas_complex_numIdEPS1_S2_PKdPKS1_EviT2_lllT3_lllT4_lT5_li.has_dyn_sized_stack, 0
	.set _ZL18rocblas_rot_kernelIiLi512E19rocblas_complex_numIdEPS1_S2_PKdPKS1_EviT2_lllT3_lllT4_lT5_li.has_recursion, 0
	.set _ZL18rocblas_rot_kernelIiLi512E19rocblas_complex_numIdEPS1_S2_PKdPKS1_EviT2_lllT3_lllT4_lT5_li.has_indirect_call, 0
	.section	.AMDGPU.csdata,"",@progbits
; Kernel info:
; codeLenInByte = 444
; TotalNumSgprs: 28
; NumVgprs: 19
; ScratchSize: 0
; MemoryBound: 0
; FloatMode: 240
; IeeeMode: 1
; LDSByteSize: 0 bytes/workgroup (compile time only)
; SGPRBlocks: 3
; VGPRBlocks: 4
; NumSGPRsForWavesPerEU: 28
; NumVGPRsForWavesPerEU: 19
; Occupancy: 10
; WaveLimiterHint : 0
; COMPUTE_PGM_RSRC2:SCRATCH_EN: 0
; COMPUTE_PGM_RSRC2:USER_SGPR: 6
; COMPUTE_PGM_RSRC2:TRAP_HANDLER: 0
; COMPUTE_PGM_RSRC2:TGID_X_EN: 1
; COMPUTE_PGM_RSRC2:TGID_Y_EN: 0
; COMPUTE_PGM_RSRC2:TGID_Z_EN: 1
; COMPUTE_PGM_RSRC2:TIDIG_COMP_CNT: 0
	.section	.text._ZL18rocblas_rot_kernelIiLi512E19rocblas_complex_numIdEPS1_S2_dS1_EviT2_lllT3_lllT4_lT5_li,"axG",@progbits,_ZL18rocblas_rot_kernelIiLi512E19rocblas_complex_numIdEPS1_S2_dS1_EviT2_lllT3_lllT4_lT5_li,comdat
	.globl	_ZL18rocblas_rot_kernelIiLi512E19rocblas_complex_numIdEPS1_S2_dS1_EviT2_lllT3_lllT4_lT5_li ; -- Begin function _ZL18rocblas_rot_kernelIiLi512E19rocblas_complex_numIdEPS1_S2_dS1_EviT2_lllT3_lllT4_lT5_li
	.p2align	8
	.type	_ZL18rocblas_rot_kernelIiLi512E19rocblas_complex_numIdEPS1_S2_dS1_EviT2_lllT3_lllT4_lT5_li,@function
_ZL18rocblas_rot_kernelIiLi512E19rocblas_complex_numIdEPS1_S2_dS1_EviT2_lllT3_lllT4_lT5_li: ; @_ZL18rocblas_rot_kernelIiLi512E19rocblas_complex_numIdEPS1_S2_dS1_EviT2_lllT3_lllT4_lT5_li
; %bb.0:
	s_load_dword s0, s[4:5], 0x0
	s_load_dword s2, s[4:5], 0x84
	v_mov_b32_e32 v1, 0
	s_waitcnt lgkmcnt(0)
	s_ashr_i32 s1, s0, 31
	s_and_b32 s2, s2, 0xffff
	s_mul_i32 s6, s6, s2
	v_add_u32_e32 v0, s6, v0
	v_cmp_gt_i64_e32 vcc, s[0:1], v[0:1]
	s_and_saveexec_b64 s[0:1], vcc
	s_cbranch_execz .LBB17_2
; %bb.1:
	s_load_dwordx16 s[8:23], s[4:5], 0x8
	s_waitcnt lgkmcnt(0)
	s_mul_i32 s1, s23, s7
	s_mul_hi_u32 s2, s22, s7
	s_mul_i32 s0, s22, s7
	s_add_i32 s1, s2, s1
	s_lshl_b64 s[0:1], s[0:1], 4
	s_add_u32 s2, s16, s0
	s_addc_u32 s6, s17, s1
	s_lshl_b64 s[0:1], s[18:19], 4
	s_mul_i32 s3, s15, s7
	s_add_u32 s15, s2, s0
	s_mul_hi_u32 s0, s14, s7
	s_addc_u32 s6, s6, s1
	s_add_i32 s1, s0, s3
	v_mad_u64_u32 v[1:2], s[2:3], s12, v0, 0
	s_mul_i32 s0, s14, s7
	s_lshl_b64 s[0:1], s[0:1], 4
	s_add_u32 s2, s8, s0
	s_addc_u32 s3, s9, s1
	v_mad_u64_u32 v[2:3], s[0:1], s13, v0, v[2:3]
	s_lshl_b64 s[0:1], s[10:11], 4
	s_add_u32 s2, s2, s0
	v_lshlrev_b64 v[1:2], 4, v[1:2]
	s_addc_u32 s3, s3, s1
	v_mov_b32_e32 v3, s3
	v_add_co_u32_e32 v13, vcc, s2, v1
	v_addc_co_u32_e32 v14, vcc, v3, v2, vcc
	global_load_dwordx4 v[1:4], v[13:14], off
	v_mad_u64_u32 v[5:6], s[0:1], s20, v0, 0
	v_mad_u64_u32 v[6:7], s[0:1], s21, v0, v[6:7]
	v_mov_b32_e32 v0, s6
	s_load_dwordx4 s[0:3], s[4:5], 0x58
	v_lshlrev_b64 v[5:6], 4, v[5:6]
	s_load_dwordx2 s[4:5], s[4:5], 0x48
	v_add_co_u32_e32 v15, vcc, s15, v5
	v_addc_co_u32_e32 v16, vcc, v0, v6, vcc
	global_load_dwordx4 v[5:8], v[15:16], off
	s_waitcnt vmcnt(1) lgkmcnt(0)
	v_mul_f64 v[11:12], s[2:3], v[1:2]
	v_mul_f64 v[9:10], s[2:3], v[3:4]
	v_fma_f64 v[11:12], s[0:1], v[3:4], -v[11:12]
	v_fma_f64 v[9:10], s[0:1], v[1:2], v[9:10]
	s_waitcnt vmcnt(0)
	v_mul_f64 v[17:18], s[2:3], v[7:8]
	v_fma_f64 v[11:12], s[4:5], v[7:8], -v[11:12]
	v_mul_f64 v[7:8], s[0:1], v[7:8]
	v_fma_f64 v[9:10], s[4:5], v[5:6], -v[9:10]
	v_fma_f64 v[17:18], s[0:1], v[5:6], -v[17:18]
	v_fma_f64 v[5:6], s[2:3], v[5:6], v[7:8]
	v_fma_f64 v[0:1], s[4:5], v[1:2], v[17:18]
	;; [unrolled: 1-line block ×3, first 2 shown]
	global_store_dwordx4 v[15:16], v[9:12], off
	global_store_dwordx4 v[13:14], v[0:3], off
.LBB17_2:
	s_endpgm
	.section	.rodata,"a",@progbits
	.p2align	6, 0x0
	.amdhsa_kernel _ZL18rocblas_rot_kernelIiLi512E19rocblas_complex_numIdEPS1_S2_dS1_EviT2_lllT3_lllT4_lT5_li
		.amdhsa_group_segment_fixed_size 0
		.amdhsa_private_segment_fixed_size 0
		.amdhsa_kernarg_size 376
		.amdhsa_user_sgpr_count 6
		.amdhsa_user_sgpr_private_segment_buffer 1
		.amdhsa_user_sgpr_dispatch_ptr 0
		.amdhsa_user_sgpr_queue_ptr 0
		.amdhsa_user_sgpr_kernarg_segment_ptr 1
		.amdhsa_user_sgpr_dispatch_id 0
		.amdhsa_user_sgpr_flat_scratch_init 0
		.amdhsa_user_sgpr_private_segment_size 0
		.amdhsa_uses_dynamic_stack 0
		.amdhsa_system_sgpr_private_segment_wavefront_offset 0
		.amdhsa_system_sgpr_workgroup_id_x 1
		.amdhsa_system_sgpr_workgroup_id_y 0
		.amdhsa_system_sgpr_workgroup_id_z 1
		.amdhsa_system_sgpr_workgroup_info 0
		.amdhsa_system_vgpr_workitem_id 0
		.amdhsa_next_free_vgpr 19
		.amdhsa_next_free_sgpr 24
		.amdhsa_reserve_vcc 1
		.amdhsa_reserve_flat_scratch 0
		.amdhsa_float_round_mode_32 0
		.amdhsa_float_round_mode_16_64 0
		.amdhsa_float_denorm_mode_32 3
		.amdhsa_float_denorm_mode_16_64 3
		.amdhsa_dx10_clamp 1
		.amdhsa_ieee_mode 1
		.amdhsa_fp16_overflow 0
		.amdhsa_exception_fp_ieee_invalid_op 0
		.amdhsa_exception_fp_denorm_src 0
		.amdhsa_exception_fp_ieee_div_zero 0
		.amdhsa_exception_fp_ieee_overflow 0
		.amdhsa_exception_fp_ieee_underflow 0
		.amdhsa_exception_fp_ieee_inexact 0
		.amdhsa_exception_int_div_zero 0
	.end_amdhsa_kernel
	.section	.text._ZL18rocblas_rot_kernelIiLi512E19rocblas_complex_numIdEPS1_S2_dS1_EviT2_lllT3_lllT4_lT5_li,"axG",@progbits,_ZL18rocblas_rot_kernelIiLi512E19rocblas_complex_numIdEPS1_S2_dS1_EviT2_lllT3_lllT4_lT5_li,comdat
.Lfunc_end17:
	.size	_ZL18rocblas_rot_kernelIiLi512E19rocblas_complex_numIdEPS1_S2_dS1_EviT2_lllT3_lllT4_lT5_li, .Lfunc_end17-_ZL18rocblas_rot_kernelIiLi512E19rocblas_complex_numIdEPS1_S2_dS1_EviT2_lllT3_lllT4_lT5_li
                                        ; -- End function
	.set _ZL18rocblas_rot_kernelIiLi512E19rocblas_complex_numIdEPS1_S2_dS1_EviT2_lllT3_lllT4_lT5_li.num_vgpr, 19
	.set _ZL18rocblas_rot_kernelIiLi512E19rocblas_complex_numIdEPS1_S2_dS1_EviT2_lllT3_lllT4_lT5_li.num_agpr, 0
	.set _ZL18rocblas_rot_kernelIiLi512E19rocblas_complex_numIdEPS1_S2_dS1_EviT2_lllT3_lllT4_lT5_li.numbered_sgpr, 24
	.set _ZL18rocblas_rot_kernelIiLi512E19rocblas_complex_numIdEPS1_S2_dS1_EviT2_lllT3_lllT4_lT5_li.num_named_barrier, 0
	.set _ZL18rocblas_rot_kernelIiLi512E19rocblas_complex_numIdEPS1_S2_dS1_EviT2_lllT3_lllT4_lT5_li.private_seg_size, 0
	.set _ZL18rocblas_rot_kernelIiLi512E19rocblas_complex_numIdEPS1_S2_dS1_EviT2_lllT3_lllT4_lT5_li.uses_vcc, 1
	.set _ZL18rocblas_rot_kernelIiLi512E19rocblas_complex_numIdEPS1_S2_dS1_EviT2_lllT3_lllT4_lT5_li.uses_flat_scratch, 0
	.set _ZL18rocblas_rot_kernelIiLi512E19rocblas_complex_numIdEPS1_S2_dS1_EviT2_lllT3_lllT4_lT5_li.has_dyn_sized_stack, 0
	.set _ZL18rocblas_rot_kernelIiLi512E19rocblas_complex_numIdEPS1_S2_dS1_EviT2_lllT3_lllT4_lT5_li.has_recursion, 0
	.set _ZL18rocblas_rot_kernelIiLi512E19rocblas_complex_numIdEPS1_S2_dS1_EviT2_lllT3_lllT4_lT5_li.has_indirect_call, 0
	.section	.AMDGPU.csdata,"",@progbits
; Kernel info:
; codeLenInByte = 376
; TotalNumSgprs: 28
; NumVgprs: 19
; ScratchSize: 0
; MemoryBound: 0
; FloatMode: 240
; IeeeMode: 1
; LDSByteSize: 0 bytes/workgroup (compile time only)
; SGPRBlocks: 3
; VGPRBlocks: 4
; NumSGPRsForWavesPerEU: 28
; NumVGPRsForWavesPerEU: 19
; Occupancy: 10
; WaveLimiterHint : 0
; COMPUTE_PGM_RSRC2:SCRATCH_EN: 0
; COMPUTE_PGM_RSRC2:USER_SGPR: 6
; COMPUTE_PGM_RSRC2:TRAP_HANDLER: 0
; COMPUTE_PGM_RSRC2:TGID_X_EN: 1
; COMPUTE_PGM_RSRC2:TGID_Y_EN: 0
; COMPUTE_PGM_RSRC2:TGID_Z_EN: 1
; COMPUTE_PGM_RSRC2:TIDIG_COMP_CNT: 0
	.section	.text._ZL18rocblas_rot_kernelIiLi512E19rocblas_complex_numIdEPS1_S2_PKS1_S4_EviT2_lllT3_lllT4_lT5_li,"axG",@progbits,_ZL18rocblas_rot_kernelIiLi512E19rocblas_complex_numIdEPS1_S2_PKS1_S4_EviT2_lllT3_lllT4_lT5_li,comdat
	.globl	_ZL18rocblas_rot_kernelIiLi512E19rocblas_complex_numIdEPS1_S2_PKS1_S4_EviT2_lllT3_lllT4_lT5_li ; -- Begin function _ZL18rocblas_rot_kernelIiLi512E19rocblas_complex_numIdEPS1_S2_PKS1_S4_EviT2_lllT3_lllT4_lT5_li
	.p2align	8
	.type	_ZL18rocblas_rot_kernelIiLi512E19rocblas_complex_numIdEPS1_S2_PKS1_S4_EviT2_lllT3_lllT4_lT5_li,@function
_ZL18rocblas_rot_kernelIiLi512E19rocblas_complex_numIdEPS1_S2_PKS1_S4_EviT2_lllT3_lllT4_lT5_li: ; @_ZL18rocblas_rot_kernelIiLi512E19rocblas_complex_numIdEPS1_S2_PKS1_S4_EviT2_lllT3_lllT4_lT5_li
; %bb.0:
	s_load_dword s0, s[4:5], 0x0
	s_load_dword s2, s[4:5], 0x7c
	v_mov_b32_e32 v1, 0
	s_waitcnt lgkmcnt(0)
	s_ashr_i32 s1, s0, 31
	s_and_b32 s2, s2, 0xffff
	s_mul_i32 s6, s6, s2
	v_add_u32_e32 v0, s6, v0
	v_cmp_gt_i64_e32 vcc, s[0:1], v[0:1]
	s_and_saveexec_b64 s[0:1], vcc
	s_cbranch_execz .LBB18_2
; %bb.1:
	s_load_dwordx16 s[8:23], s[4:5], 0x8
	s_waitcnt lgkmcnt(0)
	s_mul_i32 s1, s23, s7
	s_mul_hi_u32 s2, s22, s7
	s_mul_i32 s0, s22, s7
	s_add_i32 s1, s2, s1
	s_lshl_b64 s[0:1], s[0:1], 4
	s_add_u32 s2, s16, s0
	s_addc_u32 s6, s17, s1
	s_lshl_b64 s[0:1], s[18:19], 4
	s_mul_i32 s3, s15, s7
	s_add_u32 s15, s2, s0
	s_mul_hi_u32 s0, s14, s7
	s_addc_u32 s6, s6, s1
	s_add_i32 s1, s0, s3
	v_mad_u64_u32 v[1:2], s[2:3], s12, v0, 0
	s_mul_i32 s0, s14, s7
	s_lshl_b64 s[0:1], s[0:1], 4
	s_add_u32 s2, s8, s0
	s_addc_u32 s3, s9, s1
	v_mad_u64_u32 v[2:3], s[0:1], s13, v0, v[2:3]
	s_lshl_b64 s[0:1], s[10:11], 4
	s_add_u32 s2, s2, s0
	v_lshlrev_b64 v[1:2], 4, v[1:2]
	s_addc_u32 s3, s3, s1
	v_mov_b32_e32 v3, s3
	v_add_co_u32_e32 v13, vcc, s2, v1
	v_addc_co_u32_e32 v14, vcc, v3, v2, vcc
	global_load_dwordx4 v[1:4], v[13:14], off
	v_mad_u64_u32 v[5:6], s[0:1], s20, v0, 0
	v_mad_u64_u32 v[6:7], s[0:1], s21, v0, v[6:7]
	v_mov_b32_e32 v0, s6
	v_lshlrev_b64 v[5:6], 4, v[5:6]
	v_add_co_u32_e32 v15, vcc, s15, v5
	v_addc_co_u32_e32 v16, vcc, v0, v6, vcc
	global_load_dwordx4 v[5:8], v[15:16], off
	s_load_dwordx8 s[8:15], s[4:5], 0x48
	s_waitcnt lgkmcnt(0)
	s_mul_i32 s1, s15, s7
	s_mul_hi_u32 s2, s14, s7
	s_mul_i32 s0, s14, s7
	s_add_i32 s1, s2, s1
	s_lshl_b64 s[0:1], s[0:1], 4
	s_add_u32 s4, s12, s0
	s_addc_u32 s5, s13, s1
	s_load_dwordx4 s[0:3], s[4:5], 0x0
	s_mul_i32 s5, s11, s7
	s_mul_hi_u32 s6, s10, s7
	s_mul_i32 s4, s10, s7
	s_add_i32 s5, s6, s5
	s_lshl_b64 s[4:5], s[4:5], 4
	s_add_u32 s4, s8, s4
	s_addc_u32 s5, s9, s5
	s_load_dwordx2 s[4:5], s[4:5], 0x0
	s_waitcnt vmcnt(1) lgkmcnt(0)
	v_mul_f64 v[11:12], s[2:3], v[1:2]
	v_mul_f64 v[9:10], s[2:3], v[3:4]
	v_fma_f64 v[11:12], s[0:1], v[3:4], -v[11:12]
	v_fma_f64 v[9:10], s[0:1], v[1:2], v[9:10]
	s_waitcnt vmcnt(0)
	v_mul_f64 v[17:18], s[2:3], v[7:8]
	v_fma_f64 v[11:12], s[4:5], v[7:8], -v[11:12]
	v_mul_f64 v[7:8], s[0:1], v[7:8]
	v_fma_f64 v[9:10], s[4:5], v[5:6], -v[9:10]
	v_fma_f64 v[17:18], s[0:1], v[5:6], -v[17:18]
	v_fma_f64 v[5:6], s[2:3], v[5:6], v[7:8]
	v_fma_f64 v[0:1], s[4:5], v[1:2], v[17:18]
	v_fma_f64 v[2:3], s[4:5], v[3:4], v[5:6]
	global_store_dwordx4 v[15:16], v[9:12], off
	global_store_dwordx4 v[13:14], v[0:3], off
.LBB18_2:
	s_endpgm
	.section	.rodata,"a",@progbits
	.p2align	6, 0x0
	.amdhsa_kernel _ZL18rocblas_rot_kernelIiLi512E19rocblas_complex_numIdEPS1_S2_PKS1_S4_EviT2_lllT3_lllT4_lT5_li
		.amdhsa_group_segment_fixed_size 0
		.amdhsa_private_segment_fixed_size 0
		.amdhsa_kernarg_size 368
		.amdhsa_user_sgpr_count 6
		.amdhsa_user_sgpr_private_segment_buffer 1
		.amdhsa_user_sgpr_dispatch_ptr 0
		.amdhsa_user_sgpr_queue_ptr 0
		.amdhsa_user_sgpr_kernarg_segment_ptr 1
		.amdhsa_user_sgpr_dispatch_id 0
		.amdhsa_user_sgpr_flat_scratch_init 0
		.amdhsa_user_sgpr_private_segment_size 0
		.amdhsa_uses_dynamic_stack 0
		.amdhsa_system_sgpr_private_segment_wavefront_offset 0
		.amdhsa_system_sgpr_workgroup_id_x 1
		.amdhsa_system_sgpr_workgroup_id_y 0
		.amdhsa_system_sgpr_workgroup_id_z 1
		.amdhsa_system_sgpr_workgroup_info 0
		.amdhsa_system_vgpr_workitem_id 0
		.amdhsa_next_free_vgpr 19
		.amdhsa_next_free_sgpr 24
		.amdhsa_reserve_vcc 1
		.amdhsa_reserve_flat_scratch 0
		.amdhsa_float_round_mode_32 0
		.amdhsa_float_round_mode_16_64 0
		.amdhsa_float_denorm_mode_32 3
		.amdhsa_float_denorm_mode_16_64 3
		.amdhsa_dx10_clamp 1
		.amdhsa_ieee_mode 1
		.amdhsa_fp16_overflow 0
		.amdhsa_exception_fp_ieee_invalid_op 0
		.amdhsa_exception_fp_denorm_src 0
		.amdhsa_exception_fp_ieee_div_zero 0
		.amdhsa_exception_fp_ieee_overflow 0
		.amdhsa_exception_fp_ieee_underflow 0
		.amdhsa_exception_fp_ieee_inexact 0
		.amdhsa_exception_int_div_zero 0
	.end_amdhsa_kernel
	.section	.text._ZL18rocblas_rot_kernelIiLi512E19rocblas_complex_numIdEPS1_S2_PKS1_S4_EviT2_lllT3_lllT4_lT5_li,"axG",@progbits,_ZL18rocblas_rot_kernelIiLi512E19rocblas_complex_numIdEPS1_S2_PKS1_S4_EviT2_lllT3_lllT4_lT5_li,comdat
.Lfunc_end18:
	.size	_ZL18rocblas_rot_kernelIiLi512E19rocblas_complex_numIdEPS1_S2_PKS1_S4_EviT2_lllT3_lllT4_lT5_li, .Lfunc_end18-_ZL18rocblas_rot_kernelIiLi512E19rocblas_complex_numIdEPS1_S2_PKS1_S4_EviT2_lllT3_lllT4_lT5_li
                                        ; -- End function
	.set _ZL18rocblas_rot_kernelIiLi512E19rocblas_complex_numIdEPS1_S2_PKS1_S4_EviT2_lllT3_lllT4_lT5_li.num_vgpr, 19
	.set _ZL18rocblas_rot_kernelIiLi512E19rocblas_complex_numIdEPS1_S2_PKS1_S4_EviT2_lllT3_lllT4_lT5_li.num_agpr, 0
	.set _ZL18rocblas_rot_kernelIiLi512E19rocblas_complex_numIdEPS1_S2_PKS1_S4_EviT2_lllT3_lllT4_lT5_li.numbered_sgpr, 24
	.set _ZL18rocblas_rot_kernelIiLi512E19rocblas_complex_numIdEPS1_S2_PKS1_S4_EviT2_lllT3_lllT4_lT5_li.num_named_barrier, 0
	.set _ZL18rocblas_rot_kernelIiLi512E19rocblas_complex_numIdEPS1_S2_PKS1_S4_EviT2_lllT3_lllT4_lT5_li.private_seg_size, 0
	.set _ZL18rocblas_rot_kernelIiLi512E19rocblas_complex_numIdEPS1_S2_PKS1_S4_EviT2_lllT3_lllT4_lT5_li.uses_vcc, 1
	.set _ZL18rocblas_rot_kernelIiLi512E19rocblas_complex_numIdEPS1_S2_PKS1_S4_EviT2_lllT3_lllT4_lT5_li.uses_flat_scratch, 0
	.set _ZL18rocblas_rot_kernelIiLi512E19rocblas_complex_numIdEPS1_S2_PKS1_S4_EviT2_lllT3_lllT4_lT5_li.has_dyn_sized_stack, 0
	.set _ZL18rocblas_rot_kernelIiLi512E19rocblas_complex_numIdEPS1_S2_PKS1_S4_EviT2_lllT3_lllT4_lT5_li.has_recursion, 0
	.set _ZL18rocblas_rot_kernelIiLi512E19rocblas_complex_numIdEPS1_S2_PKS1_S4_EviT2_lllT3_lllT4_lT5_li.has_indirect_call, 0
	.section	.AMDGPU.csdata,"",@progbits
; Kernel info:
; codeLenInByte = 444
; TotalNumSgprs: 28
; NumVgprs: 19
; ScratchSize: 0
; MemoryBound: 0
; FloatMode: 240
; IeeeMode: 1
; LDSByteSize: 0 bytes/workgroup (compile time only)
; SGPRBlocks: 3
; VGPRBlocks: 4
; NumSGPRsForWavesPerEU: 28
; NumVGPRsForWavesPerEU: 19
; Occupancy: 10
; WaveLimiterHint : 0
; COMPUTE_PGM_RSRC2:SCRATCH_EN: 0
; COMPUTE_PGM_RSRC2:USER_SGPR: 6
; COMPUTE_PGM_RSRC2:TRAP_HANDLER: 0
; COMPUTE_PGM_RSRC2:TGID_X_EN: 1
; COMPUTE_PGM_RSRC2:TGID_Y_EN: 0
; COMPUTE_PGM_RSRC2:TGID_Z_EN: 1
; COMPUTE_PGM_RSRC2:TIDIG_COMP_CNT: 0
	.section	.text._ZL18rocblas_rot_kernelIiLi512E19rocblas_complex_numIdEPS1_S2_S1_S1_EviT2_lllT3_lllT4_lT5_li,"axG",@progbits,_ZL18rocblas_rot_kernelIiLi512E19rocblas_complex_numIdEPS1_S2_S1_S1_EviT2_lllT3_lllT4_lT5_li,comdat
	.globl	_ZL18rocblas_rot_kernelIiLi512E19rocblas_complex_numIdEPS1_S2_S1_S1_EviT2_lllT3_lllT4_lT5_li ; -- Begin function _ZL18rocblas_rot_kernelIiLi512E19rocblas_complex_numIdEPS1_S2_S1_S1_EviT2_lllT3_lllT4_lT5_li
	.p2align	8
	.type	_ZL18rocblas_rot_kernelIiLi512E19rocblas_complex_numIdEPS1_S2_S1_S1_EviT2_lllT3_lllT4_lT5_li,@function
_ZL18rocblas_rot_kernelIiLi512E19rocblas_complex_numIdEPS1_S2_S1_S1_EviT2_lllT3_lllT4_lT5_li: ; @_ZL18rocblas_rot_kernelIiLi512E19rocblas_complex_numIdEPS1_S2_S1_S1_EviT2_lllT3_lllT4_lT5_li
; %bb.0:
	s_load_dword s0, s[4:5], 0x0
	s_load_dword s2, s[4:5], 0x8c
	v_mov_b32_e32 v1, 0
	s_waitcnt lgkmcnt(0)
	s_ashr_i32 s1, s0, 31
	s_and_b32 s2, s2, 0xffff
	s_mul_i32 s6, s6, s2
	v_add_u32_e32 v0, s6, v0
	v_cmp_gt_i64_e32 vcc, s[0:1], v[0:1]
	s_and_saveexec_b64 s[0:1], vcc
	s_cbranch_execz .LBB19_2
; %bb.1:
	s_load_dwordx16 s[8:23], s[4:5], 0x8
	s_waitcnt lgkmcnt(0)
	s_mul_i32 s1, s23, s7
	s_mul_hi_u32 s2, s22, s7
	s_mul_i32 s0, s22, s7
	s_add_i32 s1, s2, s1
	s_lshl_b64 s[0:1], s[0:1], 4
	s_add_u32 s2, s16, s0
	s_addc_u32 s6, s17, s1
	s_lshl_b64 s[0:1], s[18:19], 4
	s_mul_i32 s3, s15, s7
	s_add_u32 s15, s2, s0
	s_mul_hi_u32 s0, s14, s7
	s_addc_u32 s6, s6, s1
	s_add_i32 s1, s0, s3
	v_mad_u64_u32 v[1:2], s[2:3], s12, v0, 0
	s_mul_i32 s0, s14, s7
	s_lshl_b64 s[0:1], s[0:1], 4
	s_add_u32 s2, s8, s0
	s_addc_u32 s3, s9, s1
	v_mad_u64_u32 v[2:3], s[0:1], s13, v0, v[2:3]
	s_lshl_b64 s[0:1], s[10:11], 4
	s_add_u32 s2, s2, s0
	v_lshlrev_b64 v[1:2], 4, v[1:2]
	s_addc_u32 s3, s3, s1
	v_mov_b32_e32 v3, s3
	v_add_co_u32_e32 v13, vcc, s2, v1
	v_addc_co_u32_e32 v14, vcc, v3, v2, vcc
	global_load_dwordx4 v[1:4], v[13:14], off
	v_mad_u64_u32 v[5:6], s[0:1], s20, v0, 0
	v_mad_u64_u32 v[6:7], s[0:1], s21, v0, v[6:7]
	v_mov_b32_e32 v0, s6
	v_lshlrev_b64 v[5:6], 4, v[5:6]
	v_add_co_u32_e32 v15, vcc, s15, v5
	v_addc_co_u32_e32 v16, vcc, v0, v6, vcc
	global_load_dwordx4 v[5:8], v[15:16], off
	s_load_dwordx4 s[0:3], s[4:5], 0x60
	s_load_dwordx2 s[6:7], s[4:5], 0x48
	s_waitcnt vmcnt(1) lgkmcnt(0)
	v_mul_f64 v[11:12], s[2:3], v[1:2]
	v_mul_f64 v[9:10], s[2:3], v[3:4]
	v_fma_f64 v[11:12], s[0:1], v[3:4], -v[11:12]
	v_fma_f64 v[9:10], s[0:1], v[1:2], v[9:10]
	s_waitcnt vmcnt(0)
	v_mul_f64 v[17:18], s[2:3], v[7:8]
	v_fma_f64 v[11:12], s[6:7], v[7:8], -v[11:12]
	v_mul_f64 v[7:8], s[0:1], v[7:8]
	v_fma_f64 v[9:10], s[6:7], v[5:6], -v[9:10]
	v_fma_f64 v[17:18], s[0:1], v[5:6], -v[17:18]
	v_fma_f64 v[5:6], s[2:3], v[5:6], v[7:8]
	v_fma_f64 v[0:1], s[6:7], v[1:2], v[17:18]
	;; [unrolled: 1-line block ×3, first 2 shown]
	global_store_dwordx4 v[15:16], v[9:12], off
	global_store_dwordx4 v[13:14], v[0:3], off
.LBB19_2:
	s_endpgm
	.section	.rodata,"a",@progbits
	.p2align	6, 0x0
	.amdhsa_kernel _ZL18rocblas_rot_kernelIiLi512E19rocblas_complex_numIdEPS1_S2_S1_S1_EviT2_lllT3_lllT4_lT5_li
		.amdhsa_group_segment_fixed_size 0
		.amdhsa_private_segment_fixed_size 0
		.amdhsa_kernarg_size 384
		.amdhsa_user_sgpr_count 6
		.amdhsa_user_sgpr_private_segment_buffer 1
		.amdhsa_user_sgpr_dispatch_ptr 0
		.amdhsa_user_sgpr_queue_ptr 0
		.amdhsa_user_sgpr_kernarg_segment_ptr 1
		.amdhsa_user_sgpr_dispatch_id 0
		.amdhsa_user_sgpr_flat_scratch_init 0
		.amdhsa_user_sgpr_private_segment_size 0
		.amdhsa_uses_dynamic_stack 0
		.amdhsa_system_sgpr_private_segment_wavefront_offset 0
		.amdhsa_system_sgpr_workgroup_id_x 1
		.amdhsa_system_sgpr_workgroup_id_y 0
		.amdhsa_system_sgpr_workgroup_id_z 1
		.amdhsa_system_sgpr_workgroup_info 0
		.amdhsa_system_vgpr_workitem_id 0
		.amdhsa_next_free_vgpr 19
		.amdhsa_next_free_sgpr 24
		.amdhsa_reserve_vcc 1
		.amdhsa_reserve_flat_scratch 0
		.amdhsa_float_round_mode_32 0
		.amdhsa_float_round_mode_16_64 0
		.amdhsa_float_denorm_mode_32 3
		.amdhsa_float_denorm_mode_16_64 3
		.amdhsa_dx10_clamp 1
		.amdhsa_ieee_mode 1
		.amdhsa_fp16_overflow 0
		.amdhsa_exception_fp_ieee_invalid_op 0
		.amdhsa_exception_fp_denorm_src 0
		.amdhsa_exception_fp_ieee_div_zero 0
		.amdhsa_exception_fp_ieee_overflow 0
		.amdhsa_exception_fp_ieee_underflow 0
		.amdhsa_exception_fp_ieee_inexact 0
		.amdhsa_exception_int_div_zero 0
	.end_amdhsa_kernel
	.section	.text._ZL18rocblas_rot_kernelIiLi512E19rocblas_complex_numIdEPS1_S2_S1_S1_EviT2_lllT3_lllT4_lT5_li,"axG",@progbits,_ZL18rocblas_rot_kernelIiLi512E19rocblas_complex_numIdEPS1_S2_S1_S1_EviT2_lllT3_lllT4_lT5_li,comdat
.Lfunc_end19:
	.size	_ZL18rocblas_rot_kernelIiLi512E19rocblas_complex_numIdEPS1_S2_S1_S1_EviT2_lllT3_lllT4_lT5_li, .Lfunc_end19-_ZL18rocblas_rot_kernelIiLi512E19rocblas_complex_numIdEPS1_S2_S1_S1_EviT2_lllT3_lllT4_lT5_li
                                        ; -- End function
	.set _ZL18rocblas_rot_kernelIiLi512E19rocblas_complex_numIdEPS1_S2_S1_S1_EviT2_lllT3_lllT4_lT5_li.num_vgpr, 19
	.set _ZL18rocblas_rot_kernelIiLi512E19rocblas_complex_numIdEPS1_S2_S1_S1_EviT2_lllT3_lllT4_lT5_li.num_agpr, 0
	.set _ZL18rocblas_rot_kernelIiLi512E19rocblas_complex_numIdEPS1_S2_S1_S1_EviT2_lllT3_lllT4_lT5_li.numbered_sgpr, 24
	.set _ZL18rocblas_rot_kernelIiLi512E19rocblas_complex_numIdEPS1_S2_S1_S1_EviT2_lllT3_lllT4_lT5_li.num_named_barrier, 0
	.set _ZL18rocblas_rot_kernelIiLi512E19rocblas_complex_numIdEPS1_S2_S1_S1_EviT2_lllT3_lllT4_lT5_li.private_seg_size, 0
	.set _ZL18rocblas_rot_kernelIiLi512E19rocblas_complex_numIdEPS1_S2_S1_S1_EviT2_lllT3_lllT4_lT5_li.uses_vcc, 1
	.set _ZL18rocblas_rot_kernelIiLi512E19rocblas_complex_numIdEPS1_S2_S1_S1_EviT2_lllT3_lllT4_lT5_li.uses_flat_scratch, 0
	.set _ZL18rocblas_rot_kernelIiLi512E19rocblas_complex_numIdEPS1_S2_S1_S1_EviT2_lllT3_lllT4_lT5_li.has_dyn_sized_stack, 0
	.set _ZL18rocblas_rot_kernelIiLi512E19rocblas_complex_numIdEPS1_S2_S1_S1_EviT2_lllT3_lllT4_lT5_li.has_recursion, 0
	.set _ZL18rocblas_rot_kernelIiLi512E19rocblas_complex_numIdEPS1_S2_S1_S1_EviT2_lllT3_lllT4_lT5_li.has_indirect_call, 0
	.section	.AMDGPU.csdata,"",@progbits
; Kernel info:
; codeLenInByte = 376
; TotalNumSgprs: 28
; NumVgprs: 19
; ScratchSize: 0
; MemoryBound: 0
; FloatMode: 240
; IeeeMode: 1
; LDSByteSize: 0 bytes/workgroup (compile time only)
; SGPRBlocks: 3
; VGPRBlocks: 4
; NumSGPRsForWavesPerEU: 28
; NumVGPRsForWavesPerEU: 19
; Occupancy: 10
; WaveLimiterHint : 1
; COMPUTE_PGM_RSRC2:SCRATCH_EN: 0
; COMPUTE_PGM_RSRC2:USER_SGPR: 6
; COMPUTE_PGM_RSRC2:TRAP_HANDLER: 0
; COMPUTE_PGM_RSRC2:TGID_X_EN: 1
; COMPUTE_PGM_RSRC2:TGID_Y_EN: 0
; COMPUTE_PGM_RSRC2:TGID_Z_EN: 1
; COMPUTE_PGM_RSRC2:TIDIG_COMP_CNT: 0
	.section	.text._ZL18rocblas_rot_kernelIiLi512EfPKPfS2_PKfS4_EviT2_lllT3_lllT4_lT5_li,"axG",@progbits,_ZL18rocblas_rot_kernelIiLi512EfPKPfS2_PKfS4_EviT2_lllT3_lllT4_lT5_li,comdat
	.globl	_ZL18rocblas_rot_kernelIiLi512EfPKPfS2_PKfS4_EviT2_lllT3_lllT4_lT5_li ; -- Begin function _ZL18rocblas_rot_kernelIiLi512EfPKPfS2_PKfS4_EviT2_lllT3_lllT4_lT5_li
	.p2align	8
	.type	_ZL18rocblas_rot_kernelIiLi512EfPKPfS2_PKfS4_EviT2_lllT3_lllT4_lT5_li,@function
_ZL18rocblas_rot_kernelIiLi512EfPKPfS2_PKfS4_EviT2_lllT3_lllT4_lT5_li: ; @_ZL18rocblas_rot_kernelIiLi512EfPKPfS2_PKfS4_EviT2_lllT3_lllT4_lT5_li
; %bb.0:
	s_load_dword s0, s[4:5], 0x0
	s_load_dword s2, s[4:5], 0x7c
	v_mov_b32_e32 v1, 0
	s_waitcnt lgkmcnt(0)
	s_ashr_i32 s1, s0, 31
	s_and_b32 s2, s2, 0xffff
	s_mul_i32 s6, s6, s2
	v_add_u32_e32 v0, s6, v0
	v_cmp_gt_i64_e32 vcc, s[0:1], v[0:1]
	s_and_saveexec_b64 s[0:1], vcc
	s_cbranch_execz .LBB20_2
; %bb.1:
	s_mov_b32 s8, s7
	s_load_dwordx4 s[0:3], s[4:5], 0x28
	s_load_dwordx2 s[6:7], s[4:5], 0x18
	s_load_dwordx2 s[10:11], s[4:5], 0x38
	s_mov_b32 s9, 0
	s_lshl_b64 s[16:17], s[8:9], 3
	s_waitcnt lgkmcnt(0)
	s_add_u32 s0, s0, s16
	s_addc_u32 s1, s1, s17
	s_load_dwordx2 s[18:19], s[0:1], 0x0
	s_load_dwordx4 s[12:15], s[4:5], 0x8
	v_mad_u64_u32 v[1:2], s[0:1], s6, v0, 0
	s_lshl_b64 s[0:1], s[2:3], 2
	s_waitcnt lgkmcnt(0)
	s_add_u32 s9, s18, s0
	s_addc_u32 s18, s19, s1
	s_add_u32 s0, s12, s16
	s_addc_u32 s1, s13, s17
	v_mad_u64_u32 v[3:4], s[12:13], s10, v0, 0
	s_load_dwordx2 s[0:1], s[0:1], 0x0
	s_lshl_b64 s[2:3], s[14:15], 2
	v_mad_u64_u32 v[5:6], s[6:7], s7, v0, v[2:3]
	v_mov_b32_e32 v2, v4
	v_mad_u64_u32 v[6:7], s[6:7], s11, v0, v[2:3]
	v_mov_b32_e32 v2, v5
	s_waitcnt lgkmcnt(0)
	s_add_u32 s0, s0, s2
	v_lshlrev_b64 v[0:1], 2, v[1:2]
	s_addc_u32 s1, s1, s3
	v_mov_b32_e32 v4, v6
	v_mov_b32_e32 v2, s1
	v_add_co_u32_e32 v0, vcc, s0, v0
	v_addc_co_u32_e32 v1, vcc, v2, v1, vcc
	v_lshlrev_b64 v[2:3], 2, v[3:4]
	v_mov_b32_e32 v4, s18
	v_add_co_u32_e32 v2, vcc, s9, v2
	v_addc_co_u32_e32 v3, vcc, v4, v3, vcc
	flat_load_dword v4, v[2:3]
	flat_load_dword v5, v[0:1]
	s_load_dwordx8 s[12:19], s[4:5], 0x48
	s_waitcnt lgkmcnt(0)
	s_mul_i32 s1, s19, s8
	s_mul_hi_u32 s3, s18, s8
	s_mul_i32 s0, s18, s8
	s_add_i32 s1, s3, s1
	s_lshl_b64 s[0:1], s[0:1], 2
	s_mul_i32 s4, s15, s8
	s_mul_hi_u32 s5, s14, s8
	s_add_u32 s0, s16, s0
	s_mul_i32 s2, s14, s8
	s_addc_u32 s1, s17, s1
	s_add_i32 s3, s5, s4
	s_load_dword s4, s[0:1], 0x0
	s_lshl_b64 s[0:1], s[2:3], 2
	s_add_u32 s0, s12, s0
	s_addc_u32 s1, s13, s1
	s_load_dword s0, s[0:1], 0x0
	s_waitcnt vmcnt(0) lgkmcnt(0)
	v_mul_f32_e32 v6, s4, v4
	v_fmac_f32_e32 v6, s0, v5
	v_mul_f32_e32 v5, s4, v5
	v_fma_f32 v4, s0, v4, -v5
	flat_store_dword v[2:3], v4
	flat_store_dword v[0:1], v6
.LBB20_2:
	s_endpgm
	.section	.rodata,"a",@progbits
	.p2align	6, 0x0
	.amdhsa_kernel _ZL18rocblas_rot_kernelIiLi512EfPKPfS2_PKfS4_EviT2_lllT3_lllT4_lT5_li
		.amdhsa_group_segment_fixed_size 0
		.amdhsa_private_segment_fixed_size 0
		.amdhsa_kernarg_size 368
		.amdhsa_user_sgpr_count 6
		.amdhsa_user_sgpr_private_segment_buffer 1
		.amdhsa_user_sgpr_dispatch_ptr 0
		.amdhsa_user_sgpr_queue_ptr 0
		.amdhsa_user_sgpr_kernarg_segment_ptr 1
		.amdhsa_user_sgpr_dispatch_id 0
		.amdhsa_user_sgpr_flat_scratch_init 0
		.amdhsa_user_sgpr_private_segment_size 0
		.amdhsa_uses_dynamic_stack 0
		.amdhsa_system_sgpr_private_segment_wavefront_offset 0
		.amdhsa_system_sgpr_workgroup_id_x 1
		.amdhsa_system_sgpr_workgroup_id_y 0
		.amdhsa_system_sgpr_workgroup_id_z 1
		.amdhsa_system_sgpr_workgroup_info 0
		.amdhsa_system_vgpr_workitem_id 0
		.amdhsa_next_free_vgpr 8
		.amdhsa_next_free_sgpr 20
		.amdhsa_reserve_vcc 1
		.amdhsa_reserve_flat_scratch 0
		.amdhsa_float_round_mode_32 0
		.amdhsa_float_round_mode_16_64 0
		.amdhsa_float_denorm_mode_32 3
		.amdhsa_float_denorm_mode_16_64 3
		.amdhsa_dx10_clamp 1
		.amdhsa_ieee_mode 1
		.amdhsa_fp16_overflow 0
		.amdhsa_exception_fp_ieee_invalid_op 0
		.amdhsa_exception_fp_denorm_src 0
		.amdhsa_exception_fp_ieee_div_zero 0
		.amdhsa_exception_fp_ieee_overflow 0
		.amdhsa_exception_fp_ieee_underflow 0
		.amdhsa_exception_fp_ieee_inexact 0
		.amdhsa_exception_int_div_zero 0
	.end_amdhsa_kernel
	.section	.text._ZL18rocblas_rot_kernelIiLi512EfPKPfS2_PKfS4_EviT2_lllT3_lllT4_lT5_li,"axG",@progbits,_ZL18rocblas_rot_kernelIiLi512EfPKPfS2_PKfS4_EviT2_lllT3_lllT4_lT5_li,comdat
.Lfunc_end20:
	.size	_ZL18rocblas_rot_kernelIiLi512EfPKPfS2_PKfS4_EviT2_lllT3_lllT4_lT5_li, .Lfunc_end20-_ZL18rocblas_rot_kernelIiLi512EfPKPfS2_PKfS4_EviT2_lllT3_lllT4_lT5_li
                                        ; -- End function
	.set _ZL18rocblas_rot_kernelIiLi512EfPKPfS2_PKfS4_EviT2_lllT3_lllT4_lT5_li.num_vgpr, 8
	.set _ZL18rocblas_rot_kernelIiLi512EfPKPfS2_PKfS4_EviT2_lllT3_lllT4_lT5_li.num_agpr, 0
	.set _ZL18rocblas_rot_kernelIiLi512EfPKPfS2_PKfS4_EviT2_lllT3_lllT4_lT5_li.numbered_sgpr, 20
	.set _ZL18rocblas_rot_kernelIiLi512EfPKPfS2_PKfS4_EviT2_lllT3_lllT4_lT5_li.num_named_barrier, 0
	.set _ZL18rocblas_rot_kernelIiLi512EfPKPfS2_PKfS4_EviT2_lllT3_lllT4_lT5_li.private_seg_size, 0
	.set _ZL18rocblas_rot_kernelIiLi512EfPKPfS2_PKfS4_EviT2_lllT3_lllT4_lT5_li.uses_vcc, 1
	.set _ZL18rocblas_rot_kernelIiLi512EfPKPfS2_PKfS4_EviT2_lllT3_lllT4_lT5_li.uses_flat_scratch, 0
	.set _ZL18rocblas_rot_kernelIiLi512EfPKPfS2_PKfS4_EviT2_lllT3_lllT4_lT5_li.has_dyn_sized_stack, 0
	.set _ZL18rocblas_rot_kernelIiLi512EfPKPfS2_PKfS4_EviT2_lllT3_lllT4_lT5_li.has_recursion, 0
	.set _ZL18rocblas_rot_kernelIiLi512EfPKPfS2_PKfS4_EviT2_lllT3_lllT4_lT5_li.has_indirect_call, 0
	.section	.AMDGPU.csdata,"",@progbits
; Kernel info:
; codeLenInByte = 396
; TotalNumSgprs: 24
; NumVgprs: 8
; ScratchSize: 0
; MemoryBound: 0
; FloatMode: 240
; IeeeMode: 1
; LDSByteSize: 0 bytes/workgroup (compile time only)
; SGPRBlocks: 2
; VGPRBlocks: 1
; NumSGPRsForWavesPerEU: 24
; NumVGPRsForWavesPerEU: 8
; Occupancy: 10
; WaveLimiterHint : 1
; COMPUTE_PGM_RSRC2:SCRATCH_EN: 0
; COMPUTE_PGM_RSRC2:USER_SGPR: 6
; COMPUTE_PGM_RSRC2:TRAP_HANDLER: 0
; COMPUTE_PGM_RSRC2:TGID_X_EN: 1
; COMPUTE_PGM_RSRC2:TGID_Y_EN: 0
; COMPUTE_PGM_RSRC2:TGID_Z_EN: 1
; COMPUTE_PGM_RSRC2:TIDIG_COMP_CNT: 0
	.section	.text._ZL18rocblas_rot_kernelIiLi512EfPKPfS2_ffEviT2_lllT3_lllT4_lT5_li,"axG",@progbits,_ZL18rocblas_rot_kernelIiLi512EfPKPfS2_ffEviT2_lllT3_lllT4_lT5_li,comdat
	.globl	_ZL18rocblas_rot_kernelIiLi512EfPKPfS2_ffEviT2_lllT3_lllT4_lT5_li ; -- Begin function _ZL18rocblas_rot_kernelIiLi512EfPKPfS2_ffEviT2_lllT3_lllT4_lT5_li
	.p2align	8
	.type	_ZL18rocblas_rot_kernelIiLi512EfPKPfS2_ffEviT2_lllT3_lllT4_lT5_li,@function
_ZL18rocblas_rot_kernelIiLi512EfPKPfS2_ffEviT2_lllT3_lllT4_lT5_li: ; @_ZL18rocblas_rot_kernelIiLi512EfPKPfS2_ffEviT2_lllT3_lllT4_lT5_li
; %bb.0:
	s_load_dword s2, s[4:5], 0x0
	s_load_dword s1, s[4:5], 0x7c
	v_mov_b32_e32 v1, 0
	s_waitcnt lgkmcnt(0)
	s_ashr_i32 s3, s2, 31
	s_and_b32 s1, s1, 0xffff
	s_mul_i32 s6, s6, s1
	v_add_u32_e32 v0, s6, v0
	v_cmp_gt_i64_e32 vcc, s[2:3], v[0:1]
	s_and_saveexec_b64 s[2:3], vcc
	s_cbranch_execz .LBB21_2
; %bb.1:
	s_mov_b32 s0, s7
	s_load_dwordx4 s[8:11], s[4:5], 0x28
	s_load_dwordx2 s[6:7], s[4:5], 0x18
	s_load_dwordx2 s[12:13], s[4:5], 0x38
	s_mov_b32 s1, 0
	s_lshl_b64 s[14:15], s[0:1], 3
	s_waitcnt lgkmcnt(0)
	s_add_u32 s8, s8, s14
	s_addc_u32 s9, s9, s15
	s_load_dwordx2 s[16:17], s[8:9], 0x0
	s_load_dwordx4 s[0:3], s[4:5], 0x8
	v_mad_u64_u32 v[1:2], s[8:9], s6, v0, 0
	s_lshl_b64 s[8:9], s[10:11], 2
	s_waitcnt lgkmcnt(0)
	s_add_u32 s10, s16, s8
	s_addc_u32 s11, s17, s9
	v_mad_u64_u32 v[3:4], s[8:9], s12, v0, 0
	s_add_u32 s0, s0, s14
	s_addc_u32 s1, s1, s15
	s_load_dwordx2 s[0:1], s[0:1], 0x0
	v_mad_u64_u32 v[5:6], s[6:7], s7, v0, v[2:3]
	v_mov_b32_e32 v2, v4
	v_mad_u64_u32 v[6:7], s[6:7], s13, v0, v[2:3]
	s_lshl_b64 s[2:3], s[2:3], 2
	v_mov_b32_e32 v2, v5
	s_waitcnt lgkmcnt(0)
	s_add_u32 s0, s0, s2
	v_lshlrev_b64 v[0:1], 2, v[1:2]
	s_addc_u32 s1, s1, s3
	v_mov_b32_e32 v4, v6
	v_mov_b32_e32 v2, s1
	v_add_co_u32_e32 v0, vcc, s0, v0
	v_addc_co_u32_e32 v1, vcc, v2, v1, vcc
	v_lshlrev_b64 v[2:3], 2, v[3:4]
	v_mov_b32_e32 v4, s11
	v_add_co_u32_e32 v2, vcc, s10, v2
	v_addc_co_u32_e32 v3, vcc, v4, v3, vcc
	flat_load_dword v4, v[2:3]
	flat_load_dword v5, v[0:1]
	s_load_dword s0, s[4:5], 0x58
	s_load_dword s1, s[4:5], 0x48
	s_waitcnt vmcnt(0) lgkmcnt(0)
	v_mul_f32_e32 v6, s0, v4
	v_fmac_f32_e32 v6, s1, v5
	v_mul_f32_e32 v5, s0, v5
	v_fma_f32 v4, s1, v4, -v5
	flat_store_dword v[2:3], v4
	flat_store_dword v[0:1], v6
.LBB21_2:
	s_endpgm
	.section	.rodata,"a",@progbits
	.p2align	6, 0x0
	.amdhsa_kernel _ZL18rocblas_rot_kernelIiLi512EfPKPfS2_ffEviT2_lllT3_lllT4_lT5_li
		.amdhsa_group_segment_fixed_size 0
		.amdhsa_private_segment_fixed_size 0
		.amdhsa_kernarg_size 368
		.amdhsa_user_sgpr_count 6
		.amdhsa_user_sgpr_private_segment_buffer 1
		.amdhsa_user_sgpr_dispatch_ptr 0
		.amdhsa_user_sgpr_queue_ptr 0
		.amdhsa_user_sgpr_kernarg_segment_ptr 1
		.amdhsa_user_sgpr_dispatch_id 0
		.amdhsa_user_sgpr_flat_scratch_init 0
		.amdhsa_user_sgpr_private_segment_size 0
		.amdhsa_uses_dynamic_stack 0
		.amdhsa_system_sgpr_private_segment_wavefront_offset 0
		.amdhsa_system_sgpr_workgroup_id_x 1
		.amdhsa_system_sgpr_workgroup_id_y 0
		.amdhsa_system_sgpr_workgroup_id_z 1
		.amdhsa_system_sgpr_workgroup_info 0
		.amdhsa_system_vgpr_workitem_id 0
		.amdhsa_next_free_vgpr 8
		.amdhsa_next_free_sgpr 18
		.amdhsa_reserve_vcc 1
		.amdhsa_reserve_flat_scratch 0
		.amdhsa_float_round_mode_32 0
		.amdhsa_float_round_mode_16_64 0
		.amdhsa_float_denorm_mode_32 3
		.amdhsa_float_denorm_mode_16_64 3
		.amdhsa_dx10_clamp 1
		.amdhsa_ieee_mode 1
		.amdhsa_fp16_overflow 0
		.amdhsa_exception_fp_ieee_invalid_op 0
		.amdhsa_exception_fp_denorm_src 0
		.amdhsa_exception_fp_ieee_div_zero 0
		.amdhsa_exception_fp_ieee_overflow 0
		.amdhsa_exception_fp_ieee_underflow 0
		.amdhsa_exception_fp_ieee_inexact 0
		.amdhsa_exception_int_div_zero 0
	.end_amdhsa_kernel
	.section	.text._ZL18rocblas_rot_kernelIiLi512EfPKPfS2_ffEviT2_lllT3_lllT4_lT5_li,"axG",@progbits,_ZL18rocblas_rot_kernelIiLi512EfPKPfS2_ffEviT2_lllT3_lllT4_lT5_li,comdat
.Lfunc_end21:
	.size	_ZL18rocblas_rot_kernelIiLi512EfPKPfS2_ffEviT2_lllT3_lllT4_lT5_li, .Lfunc_end21-_ZL18rocblas_rot_kernelIiLi512EfPKPfS2_ffEviT2_lllT3_lllT4_lT5_li
                                        ; -- End function
	.set _ZL18rocblas_rot_kernelIiLi512EfPKPfS2_ffEviT2_lllT3_lllT4_lT5_li.num_vgpr, 8
	.set _ZL18rocblas_rot_kernelIiLi512EfPKPfS2_ffEviT2_lllT3_lllT4_lT5_li.num_agpr, 0
	.set _ZL18rocblas_rot_kernelIiLi512EfPKPfS2_ffEviT2_lllT3_lllT4_lT5_li.numbered_sgpr, 18
	.set _ZL18rocblas_rot_kernelIiLi512EfPKPfS2_ffEviT2_lllT3_lllT4_lT5_li.num_named_barrier, 0
	.set _ZL18rocblas_rot_kernelIiLi512EfPKPfS2_ffEviT2_lllT3_lllT4_lT5_li.private_seg_size, 0
	.set _ZL18rocblas_rot_kernelIiLi512EfPKPfS2_ffEviT2_lllT3_lllT4_lT5_li.uses_vcc, 1
	.set _ZL18rocblas_rot_kernelIiLi512EfPKPfS2_ffEviT2_lllT3_lllT4_lT5_li.uses_flat_scratch, 0
	.set _ZL18rocblas_rot_kernelIiLi512EfPKPfS2_ffEviT2_lllT3_lllT4_lT5_li.has_dyn_sized_stack, 0
	.set _ZL18rocblas_rot_kernelIiLi512EfPKPfS2_ffEviT2_lllT3_lllT4_lT5_li.has_recursion, 0
	.set _ZL18rocblas_rot_kernelIiLi512EfPKPfS2_ffEviT2_lllT3_lllT4_lT5_li.has_indirect_call, 0
	.section	.AMDGPU.csdata,"",@progbits
; Kernel info:
; codeLenInByte = 328
; TotalNumSgprs: 22
; NumVgprs: 8
; ScratchSize: 0
; MemoryBound: 0
; FloatMode: 240
; IeeeMode: 1
; LDSByteSize: 0 bytes/workgroup (compile time only)
; SGPRBlocks: 2
; VGPRBlocks: 1
; NumSGPRsForWavesPerEU: 22
; NumVGPRsForWavesPerEU: 8
; Occupancy: 10
; WaveLimiterHint : 1
; COMPUTE_PGM_RSRC2:SCRATCH_EN: 0
; COMPUTE_PGM_RSRC2:USER_SGPR: 6
; COMPUTE_PGM_RSRC2:TRAP_HANDLER: 0
; COMPUTE_PGM_RSRC2:TGID_X_EN: 1
; COMPUTE_PGM_RSRC2:TGID_Y_EN: 0
; COMPUTE_PGM_RSRC2:TGID_Z_EN: 1
; COMPUTE_PGM_RSRC2:TIDIG_COMP_CNT: 0
	.section	.text._ZL18rocblas_rot_kernelIiLi512EdPKPdS2_PKdS4_EviT2_lllT3_lllT4_lT5_li,"axG",@progbits,_ZL18rocblas_rot_kernelIiLi512EdPKPdS2_PKdS4_EviT2_lllT3_lllT4_lT5_li,comdat
	.globl	_ZL18rocblas_rot_kernelIiLi512EdPKPdS2_PKdS4_EviT2_lllT3_lllT4_lT5_li ; -- Begin function _ZL18rocblas_rot_kernelIiLi512EdPKPdS2_PKdS4_EviT2_lllT3_lllT4_lT5_li
	.p2align	8
	.type	_ZL18rocblas_rot_kernelIiLi512EdPKPdS2_PKdS4_EviT2_lllT3_lllT4_lT5_li,@function
_ZL18rocblas_rot_kernelIiLi512EdPKPdS2_PKdS4_EviT2_lllT3_lllT4_lT5_li: ; @_ZL18rocblas_rot_kernelIiLi512EdPKPdS2_PKdS4_EviT2_lllT3_lllT4_lT5_li
; %bb.0:
	s_load_dword s0, s[4:5], 0x0
	s_load_dword s2, s[4:5], 0x7c
	v_mov_b32_e32 v1, 0
	s_waitcnt lgkmcnt(0)
	s_ashr_i32 s1, s0, 31
	s_and_b32 s2, s2, 0xffff
	s_mul_i32 s6, s6, s2
	v_add_u32_e32 v0, s6, v0
	v_cmp_gt_i64_e32 vcc, s[0:1], v[0:1]
	s_and_saveexec_b64 s[0:1], vcc
	s_cbranch_execz .LBB22_2
; %bb.1:
	s_mov_b32 s8, s7
	s_load_dwordx4 s[0:3], s[4:5], 0x28
	s_load_dwordx2 s[6:7], s[4:5], 0x18
	s_load_dwordx2 s[10:11], s[4:5], 0x38
	s_mov_b32 s9, 0
	s_lshl_b64 s[16:17], s[8:9], 3
	s_waitcnt lgkmcnt(0)
	s_add_u32 s0, s0, s16
	s_addc_u32 s1, s1, s17
	s_load_dwordx2 s[18:19], s[0:1], 0x0
	s_load_dwordx4 s[12:15], s[4:5], 0x8
	v_mad_u64_u32 v[1:2], s[0:1], s6, v0, 0
	s_lshl_b64 s[0:1], s[2:3], 3
	s_waitcnt lgkmcnt(0)
	s_add_u32 s9, s18, s0
	s_addc_u32 s18, s19, s1
	s_add_u32 s0, s12, s16
	s_addc_u32 s1, s13, s17
	v_mad_u64_u32 v[3:4], s[12:13], s10, v0, 0
	s_load_dwordx2 s[0:1], s[0:1], 0x0
	s_lshl_b64 s[2:3], s[14:15], 3
	v_mad_u64_u32 v[5:6], s[6:7], s7, v0, v[2:3]
	v_mov_b32_e32 v2, v4
	v_mad_u64_u32 v[6:7], s[6:7], s11, v0, v[2:3]
	v_mov_b32_e32 v2, v5
	s_waitcnt lgkmcnt(0)
	s_add_u32 s0, s0, s2
	v_lshlrev_b64 v[0:1], 3, v[1:2]
	s_addc_u32 s1, s1, s3
	v_mov_b32_e32 v4, v6
	v_mov_b32_e32 v2, s1
	v_add_co_u32_e32 v0, vcc, s0, v0
	v_addc_co_u32_e32 v1, vcc, v2, v1, vcc
	v_lshlrev_b64 v[2:3], 3, v[3:4]
	v_mov_b32_e32 v4, s18
	v_add_co_u32_e32 v2, vcc, s9, v2
	flat_load_dwordx2 v[5:6], v[0:1]
	v_addc_co_u32_e32 v3, vcc, v4, v3, vcc
	flat_load_dwordx2 v[7:8], v[2:3]
	s_load_dwordx8 s[12:19], s[4:5], 0x48
	s_waitcnt lgkmcnt(0)
	s_mul_i32 s1, s19, s8
	s_mul_hi_u32 s2, s18, s8
	s_mul_i32 s0, s18, s8
	s_add_i32 s1, s2, s1
	s_lshl_b64 s[0:1], s[0:1], 3
	s_add_u32 s0, s16, s0
	s_addc_u32 s1, s17, s1
	s_load_dwordx2 s[0:1], s[0:1], 0x0
	s_mul_i32 s3, s15, s8
	s_mul_hi_u32 s4, s14, s8
	s_mul_i32 s2, s14, s8
	s_add_i32 s3, s4, s3
	s_lshl_b64 s[2:3], s[2:3], 3
	s_add_u32 s2, s12, s2
	s_addc_u32 s3, s13, s3
	s_waitcnt vmcnt(0) lgkmcnt(0)
	v_mul_f64 v[9:10], s[0:1], v[5:6]
	v_mul_f64 v[11:12], s[0:1], v[7:8]
	s_load_dwordx2 s[0:1], s[2:3], 0x0
	s_waitcnt lgkmcnt(0)
	v_fma_f64 v[7:8], s[0:1], v[7:8], -v[9:10]
	v_fma_f64 v[4:5], s[0:1], v[5:6], v[11:12]
	flat_store_dwordx2 v[2:3], v[7:8]
	flat_store_dwordx2 v[0:1], v[4:5]
.LBB22_2:
	s_endpgm
	.section	.rodata,"a",@progbits
	.p2align	6, 0x0
	.amdhsa_kernel _ZL18rocblas_rot_kernelIiLi512EdPKPdS2_PKdS4_EviT2_lllT3_lllT4_lT5_li
		.amdhsa_group_segment_fixed_size 0
		.amdhsa_private_segment_fixed_size 0
		.amdhsa_kernarg_size 368
		.amdhsa_user_sgpr_count 6
		.amdhsa_user_sgpr_private_segment_buffer 1
		.amdhsa_user_sgpr_dispatch_ptr 0
		.amdhsa_user_sgpr_queue_ptr 0
		.amdhsa_user_sgpr_kernarg_segment_ptr 1
		.amdhsa_user_sgpr_dispatch_id 0
		.amdhsa_user_sgpr_flat_scratch_init 0
		.amdhsa_user_sgpr_private_segment_size 0
		.amdhsa_uses_dynamic_stack 0
		.amdhsa_system_sgpr_private_segment_wavefront_offset 0
		.amdhsa_system_sgpr_workgroup_id_x 1
		.amdhsa_system_sgpr_workgroup_id_y 0
		.amdhsa_system_sgpr_workgroup_id_z 1
		.amdhsa_system_sgpr_workgroup_info 0
		.amdhsa_system_vgpr_workitem_id 0
		.amdhsa_next_free_vgpr 13
		.amdhsa_next_free_sgpr 20
		.amdhsa_reserve_vcc 1
		.amdhsa_reserve_flat_scratch 0
		.amdhsa_float_round_mode_32 0
		.amdhsa_float_round_mode_16_64 0
		.amdhsa_float_denorm_mode_32 3
		.amdhsa_float_denorm_mode_16_64 3
		.amdhsa_dx10_clamp 1
		.amdhsa_ieee_mode 1
		.amdhsa_fp16_overflow 0
		.amdhsa_exception_fp_ieee_invalid_op 0
		.amdhsa_exception_fp_denorm_src 0
		.amdhsa_exception_fp_ieee_div_zero 0
		.amdhsa_exception_fp_ieee_overflow 0
		.amdhsa_exception_fp_ieee_underflow 0
		.amdhsa_exception_fp_ieee_inexact 0
		.amdhsa_exception_int_div_zero 0
	.end_amdhsa_kernel
	.section	.text._ZL18rocblas_rot_kernelIiLi512EdPKPdS2_PKdS4_EviT2_lllT3_lllT4_lT5_li,"axG",@progbits,_ZL18rocblas_rot_kernelIiLi512EdPKPdS2_PKdS4_EviT2_lllT3_lllT4_lT5_li,comdat
.Lfunc_end22:
	.size	_ZL18rocblas_rot_kernelIiLi512EdPKPdS2_PKdS4_EviT2_lllT3_lllT4_lT5_li, .Lfunc_end22-_ZL18rocblas_rot_kernelIiLi512EdPKPdS2_PKdS4_EviT2_lllT3_lllT4_lT5_li
                                        ; -- End function
	.set _ZL18rocblas_rot_kernelIiLi512EdPKPdS2_PKdS4_EviT2_lllT3_lllT4_lT5_li.num_vgpr, 13
	.set _ZL18rocblas_rot_kernelIiLi512EdPKPdS2_PKdS4_EviT2_lllT3_lllT4_lT5_li.num_agpr, 0
	.set _ZL18rocblas_rot_kernelIiLi512EdPKPdS2_PKdS4_EviT2_lllT3_lllT4_lT5_li.numbered_sgpr, 20
	.set _ZL18rocblas_rot_kernelIiLi512EdPKPdS2_PKdS4_EviT2_lllT3_lllT4_lT5_li.num_named_barrier, 0
	.set _ZL18rocblas_rot_kernelIiLi512EdPKPdS2_PKdS4_EviT2_lllT3_lllT4_lT5_li.private_seg_size, 0
	.set _ZL18rocblas_rot_kernelIiLi512EdPKPdS2_PKdS4_EviT2_lllT3_lllT4_lT5_li.uses_vcc, 1
	.set _ZL18rocblas_rot_kernelIiLi512EdPKPdS2_PKdS4_EviT2_lllT3_lllT4_lT5_li.uses_flat_scratch, 0
	.set _ZL18rocblas_rot_kernelIiLi512EdPKPdS2_PKdS4_EviT2_lllT3_lllT4_lT5_li.has_dyn_sized_stack, 0
	.set _ZL18rocblas_rot_kernelIiLi512EdPKPdS2_PKdS4_EviT2_lllT3_lllT4_lT5_li.has_recursion, 0
	.set _ZL18rocblas_rot_kernelIiLi512EdPKPdS2_PKdS4_EviT2_lllT3_lllT4_lT5_li.has_indirect_call, 0
	.section	.AMDGPU.csdata,"",@progbits
; Kernel info:
; codeLenInByte = 412
; TotalNumSgprs: 24
; NumVgprs: 13
; ScratchSize: 0
; MemoryBound: 0
; FloatMode: 240
; IeeeMode: 1
; LDSByteSize: 0 bytes/workgroup (compile time only)
; SGPRBlocks: 2
; VGPRBlocks: 3
; NumSGPRsForWavesPerEU: 24
; NumVGPRsForWavesPerEU: 13
; Occupancy: 10
; WaveLimiterHint : 1
; COMPUTE_PGM_RSRC2:SCRATCH_EN: 0
; COMPUTE_PGM_RSRC2:USER_SGPR: 6
; COMPUTE_PGM_RSRC2:TRAP_HANDLER: 0
; COMPUTE_PGM_RSRC2:TGID_X_EN: 1
; COMPUTE_PGM_RSRC2:TGID_Y_EN: 0
; COMPUTE_PGM_RSRC2:TGID_Z_EN: 1
; COMPUTE_PGM_RSRC2:TIDIG_COMP_CNT: 0
	.section	.text._ZL18rocblas_rot_kernelIiLi512EdPKPdS2_ddEviT2_lllT3_lllT4_lT5_li,"axG",@progbits,_ZL18rocblas_rot_kernelIiLi512EdPKPdS2_ddEviT2_lllT3_lllT4_lT5_li,comdat
	.globl	_ZL18rocblas_rot_kernelIiLi512EdPKPdS2_ddEviT2_lllT3_lllT4_lT5_li ; -- Begin function _ZL18rocblas_rot_kernelIiLi512EdPKPdS2_ddEviT2_lllT3_lllT4_lT5_li
	.p2align	8
	.type	_ZL18rocblas_rot_kernelIiLi512EdPKPdS2_ddEviT2_lllT3_lllT4_lT5_li,@function
_ZL18rocblas_rot_kernelIiLi512EdPKPdS2_ddEviT2_lllT3_lllT4_lT5_li: ; @_ZL18rocblas_rot_kernelIiLi512EdPKPdS2_ddEviT2_lllT3_lllT4_lT5_li
; %bb.0:
	s_load_dword s2, s[4:5], 0x0
	s_load_dword s1, s[4:5], 0x7c
	v_mov_b32_e32 v1, 0
	s_waitcnt lgkmcnt(0)
	s_ashr_i32 s3, s2, 31
	s_and_b32 s1, s1, 0xffff
	s_mul_i32 s6, s6, s1
	v_add_u32_e32 v0, s6, v0
	v_cmp_gt_i64_e32 vcc, s[2:3], v[0:1]
	s_and_saveexec_b64 s[2:3], vcc
	s_cbranch_execz .LBB23_2
; %bb.1:
	s_mov_b32 s0, s7
	s_load_dwordx4 s[8:11], s[4:5], 0x28
	s_load_dwordx2 s[6:7], s[4:5], 0x18
	s_load_dwordx2 s[12:13], s[4:5], 0x38
	s_mov_b32 s1, 0
	s_lshl_b64 s[14:15], s[0:1], 3
	s_waitcnt lgkmcnt(0)
	s_add_u32 s8, s8, s14
	s_addc_u32 s9, s9, s15
	s_load_dwordx2 s[16:17], s[8:9], 0x0
	s_load_dwordx4 s[0:3], s[4:5], 0x8
	v_mad_u64_u32 v[1:2], s[8:9], s6, v0, 0
	s_lshl_b64 s[8:9], s[10:11], 3
	s_waitcnt lgkmcnt(0)
	s_add_u32 s10, s16, s8
	s_addc_u32 s11, s17, s9
	v_mad_u64_u32 v[3:4], s[8:9], s12, v0, 0
	s_add_u32 s0, s0, s14
	s_addc_u32 s1, s1, s15
	s_load_dwordx2 s[0:1], s[0:1], 0x0
	v_mad_u64_u32 v[5:6], s[6:7], s7, v0, v[2:3]
	v_mov_b32_e32 v2, v4
	v_mad_u64_u32 v[6:7], s[6:7], s13, v0, v[2:3]
	s_lshl_b64 s[2:3], s[2:3], 3
	v_mov_b32_e32 v2, v5
	s_waitcnt lgkmcnt(0)
	s_add_u32 s0, s0, s2
	v_lshlrev_b64 v[0:1], 3, v[1:2]
	s_addc_u32 s1, s1, s3
	v_mov_b32_e32 v4, v6
	v_mov_b32_e32 v2, s1
	v_add_co_u32_e32 v0, vcc, s0, v0
	v_addc_co_u32_e32 v1, vcc, v2, v1, vcc
	v_lshlrev_b64 v[2:3], 3, v[3:4]
	v_mov_b32_e32 v4, s11
	v_add_co_u32_e32 v2, vcc, s10, v2
	flat_load_dwordx2 v[5:6], v[0:1]
	v_addc_co_u32_e32 v3, vcc, v4, v3, vcc
	flat_load_dwordx2 v[7:8], v[2:3]
	s_load_dwordx2 s[0:1], s[4:5], 0x58
	s_waitcnt vmcnt(0) lgkmcnt(0)
	v_mul_f64 v[9:10], s[0:1], v[5:6]
	v_mul_f64 v[11:12], s[0:1], v[7:8]
	s_load_dwordx2 s[0:1], s[4:5], 0x48
	s_waitcnt lgkmcnt(0)
	v_fma_f64 v[7:8], s[0:1], v[7:8], -v[9:10]
	v_fma_f64 v[4:5], s[0:1], v[5:6], v[11:12]
	flat_store_dwordx2 v[2:3], v[7:8]
	flat_store_dwordx2 v[0:1], v[4:5]
.LBB23_2:
	s_endpgm
	.section	.rodata,"a",@progbits
	.p2align	6, 0x0
	.amdhsa_kernel _ZL18rocblas_rot_kernelIiLi512EdPKPdS2_ddEviT2_lllT3_lllT4_lT5_li
		.amdhsa_group_segment_fixed_size 0
		.amdhsa_private_segment_fixed_size 0
		.amdhsa_kernarg_size 368
		.amdhsa_user_sgpr_count 6
		.amdhsa_user_sgpr_private_segment_buffer 1
		.amdhsa_user_sgpr_dispatch_ptr 0
		.amdhsa_user_sgpr_queue_ptr 0
		.amdhsa_user_sgpr_kernarg_segment_ptr 1
		.amdhsa_user_sgpr_dispatch_id 0
		.amdhsa_user_sgpr_flat_scratch_init 0
		.amdhsa_user_sgpr_private_segment_size 0
		.amdhsa_uses_dynamic_stack 0
		.amdhsa_system_sgpr_private_segment_wavefront_offset 0
		.amdhsa_system_sgpr_workgroup_id_x 1
		.amdhsa_system_sgpr_workgroup_id_y 0
		.amdhsa_system_sgpr_workgroup_id_z 1
		.amdhsa_system_sgpr_workgroup_info 0
		.amdhsa_system_vgpr_workitem_id 0
		.amdhsa_next_free_vgpr 13
		.amdhsa_next_free_sgpr 18
		.amdhsa_reserve_vcc 1
		.amdhsa_reserve_flat_scratch 0
		.amdhsa_float_round_mode_32 0
		.amdhsa_float_round_mode_16_64 0
		.amdhsa_float_denorm_mode_32 3
		.amdhsa_float_denorm_mode_16_64 3
		.amdhsa_dx10_clamp 1
		.amdhsa_ieee_mode 1
		.amdhsa_fp16_overflow 0
		.amdhsa_exception_fp_ieee_invalid_op 0
		.amdhsa_exception_fp_denorm_src 0
		.amdhsa_exception_fp_ieee_div_zero 0
		.amdhsa_exception_fp_ieee_overflow 0
		.amdhsa_exception_fp_ieee_underflow 0
		.amdhsa_exception_fp_ieee_inexact 0
		.amdhsa_exception_int_div_zero 0
	.end_amdhsa_kernel
	.section	.text._ZL18rocblas_rot_kernelIiLi512EdPKPdS2_ddEviT2_lllT3_lllT4_lT5_li,"axG",@progbits,_ZL18rocblas_rot_kernelIiLi512EdPKPdS2_ddEviT2_lllT3_lllT4_lT5_li,comdat
.Lfunc_end23:
	.size	_ZL18rocblas_rot_kernelIiLi512EdPKPdS2_ddEviT2_lllT3_lllT4_lT5_li, .Lfunc_end23-_ZL18rocblas_rot_kernelIiLi512EdPKPdS2_ddEviT2_lllT3_lllT4_lT5_li
                                        ; -- End function
	.set _ZL18rocblas_rot_kernelIiLi512EdPKPdS2_ddEviT2_lllT3_lllT4_lT5_li.num_vgpr, 13
	.set _ZL18rocblas_rot_kernelIiLi512EdPKPdS2_ddEviT2_lllT3_lllT4_lT5_li.num_agpr, 0
	.set _ZL18rocblas_rot_kernelIiLi512EdPKPdS2_ddEviT2_lllT3_lllT4_lT5_li.numbered_sgpr, 18
	.set _ZL18rocblas_rot_kernelIiLi512EdPKPdS2_ddEviT2_lllT3_lllT4_lT5_li.num_named_barrier, 0
	.set _ZL18rocblas_rot_kernelIiLi512EdPKPdS2_ddEviT2_lllT3_lllT4_lT5_li.private_seg_size, 0
	.set _ZL18rocblas_rot_kernelIiLi512EdPKPdS2_ddEviT2_lllT3_lllT4_lT5_li.uses_vcc, 1
	.set _ZL18rocblas_rot_kernelIiLi512EdPKPdS2_ddEviT2_lllT3_lllT4_lT5_li.uses_flat_scratch, 0
	.set _ZL18rocblas_rot_kernelIiLi512EdPKPdS2_ddEviT2_lllT3_lllT4_lT5_li.has_dyn_sized_stack, 0
	.set _ZL18rocblas_rot_kernelIiLi512EdPKPdS2_ddEviT2_lllT3_lllT4_lT5_li.has_recursion, 0
	.set _ZL18rocblas_rot_kernelIiLi512EdPKPdS2_ddEviT2_lllT3_lllT4_lT5_li.has_indirect_call, 0
	.section	.AMDGPU.csdata,"",@progbits
; Kernel info:
; codeLenInByte = 344
; TotalNumSgprs: 22
; NumVgprs: 13
; ScratchSize: 0
; MemoryBound: 0
; FloatMode: 240
; IeeeMode: 1
; LDSByteSize: 0 bytes/workgroup (compile time only)
; SGPRBlocks: 2
; VGPRBlocks: 3
; NumSGPRsForWavesPerEU: 22
; NumVGPRsForWavesPerEU: 13
; Occupancy: 10
; WaveLimiterHint : 1
; COMPUTE_PGM_RSRC2:SCRATCH_EN: 0
; COMPUTE_PGM_RSRC2:USER_SGPR: 6
; COMPUTE_PGM_RSRC2:TRAP_HANDLER: 0
; COMPUTE_PGM_RSRC2:TGID_X_EN: 1
; COMPUTE_PGM_RSRC2:TGID_Y_EN: 0
; COMPUTE_PGM_RSRC2:TGID_Z_EN: 1
; COMPUTE_PGM_RSRC2:TIDIG_COMP_CNT: 0
	.section	.text._ZL18rocblas_rot_kernelIiLi512EfPKP16rocblas_bfloat16S3_PKS0_S5_EviT2_lllT3_lllT4_lT5_li,"axG",@progbits,_ZL18rocblas_rot_kernelIiLi512EfPKP16rocblas_bfloat16S3_PKS0_S5_EviT2_lllT3_lllT4_lT5_li,comdat
	.globl	_ZL18rocblas_rot_kernelIiLi512EfPKP16rocblas_bfloat16S3_PKS0_S5_EviT2_lllT3_lllT4_lT5_li ; -- Begin function _ZL18rocblas_rot_kernelIiLi512EfPKP16rocblas_bfloat16S3_PKS0_S5_EviT2_lllT3_lllT4_lT5_li
	.p2align	8
	.type	_ZL18rocblas_rot_kernelIiLi512EfPKP16rocblas_bfloat16S3_PKS0_S5_EviT2_lllT3_lllT4_lT5_li,@function
_ZL18rocblas_rot_kernelIiLi512EfPKP16rocblas_bfloat16S3_PKS0_S5_EviT2_lllT3_lllT4_lT5_li: ; @_ZL18rocblas_rot_kernelIiLi512EfPKP16rocblas_bfloat16S3_PKS0_S5_EviT2_lllT3_lllT4_lT5_li
; %bb.0:
	s_load_dword s0, s[4:5], 0x0
	s_load_dword s2, s[4:5], 0x7c
	v_mov_b32_e32 v3, 0
	s_waitcnt lgkmcnt(0)
	s_ashr_i32 s1, s0, 31
	s_and_b32 s2, s2, 0xffff
	s_mul_i32 s6, s6, s2
	v_add_u32_e32 v2, s6, v0
	v_cmp_gt_i64_e32 vcc, s[0:1], v[2:3]
	s_and_saveexec_b64 s[0:1], vcc
	s_cbranch_execz .LBB24_26
; %bb.1:
	s_mov_b32 s16, s7
	s_load_dwordx8 s[8:15], s[4:5], 0x48
	s_load_dwordx4 s[20:23], s[4:5], 0x8
	s_load_dwordx2 s[18:19], s[4:5], 0x18
	s_load_dwordx4 s[0:3], s[4:5], 0x28
	s_load_dwordx2 s[6:7], s[4:5], 0x38
	s_waitcnt lgkmcnt(0)
	s_mul_i32 s4, s15, s16
	s_mul_hi_u32 s5, s14, s16
	s_add_i32 s5, s5, s4
	s_mul_i32 s4, s14, s16
	s_lshl_b64 s[4:5], s[4:5], 1
	s_mov_b32 s17, 0
	s_add_u32 s4, s12, s4
	s_addc_u32 s5, s13, s5
	s_lshl_b64 s[12:13], s[16:17], 3
	s_add_u32 s0, s0, s12
	s_addc_u32 s1, s1, s13
	s_add_u32 s12, s20, s12
	s_addc_u32 s13, s21, s13
	s_load_dwordx2 s[12:13], s[12:13], 0x0
	s_lshl_b64 s[14:15], s[22:23], 1
	s_mul_i32 s11, s11, s16
	s_waitcnt lgkmcnt(0)
	s_add_u32 s14, s12, s14
	s_addc_u32 s15, s13, s15
	v_mad_u64_u32 v[0:1], s[12:13], s18, v2, 0
	s_mul_hi_u32 s12, s10, s16
	s_add_i32 s11, s12, s11
	v_mad_u64_u32 v[4:5], s[12:13], s19, v2, v[1:2]
	s_mul_i32 s10, s10, s16
	s_lshl_b64 s[10:11], s[10:11], 1
	v_mov_b32_e32 v1, v4
	v_lshlrev_b64 v[0:1], 1, v[0:1]
	v_mov_b32_e32 v4, s15
	v_add_co_u32_e32 v0, vcc, s14, v0
	s_add_u32 s8, s8, s10
	v_addc_co_u32_e32 v1, vcc, v4, v1, vcc
	s_addc_u32 s9, s9, s11
	flat_load_ushort v4, v[0:1]
	global_load_ushort v7, v3, s[8:9]
	global_load_ushort v6, v3, s[4:5]
	s_load_dwordx2 s[0:1], s[0:1], 0x0
	s_mov_b32 s4, 0x7f800000
	s_waitcnt vmcnt(0) lgkmcnt(0)
	v_lshlrev_b32_e32 v5, 16, v4
	v_lshlrev_b32_e32 v7, 16, v7
	v_mul_f32_e32 v3, v7, v5
	v_and_b32_e32 v4, 0x7f800000, v3
	v_cmp_ne_u32_e32 vcc, s4, v4
                                        ; implicit-def: $vgpr4
	s_and_saveexec_b64 s[4:5], vcc
	s_xor_b64 s[4:5], exec, s[4:5]
; %bb.2:
	v_bfe_u32 v4, v3, 16, 1
	s_movk_i32 s8, 0x7fff
	v_add3_u32 v4, v3, v4, s8
                                        ; implicit-def: $vgpr3
; %bb.3:
	s_andn2_saveexec_b64 s[4:5], s[4:5]
; %bb.4:
	v_mov_b32_e32 v4, 0
	v_or_b32_e32 v8, 0x10000, v3
	v_cmp_eq_u32_sdwa vcc, v3, v4 src0_sel:WORD_0 src1_sel:DWORD
	v_cndmask_b32_e32 v4, v8, v3, vcc
; %bb.5:
	s_or_b64 exec, exec, s[4:5]
	v_mad_u64_u32 v[8:9], s[4:5], s6, v2, 0
	s_lshl_b64 s[2:3], s[2:3], 1
	s_add_u32 s0, s0, s2
	v_mov_b32_e32 v3, v9
	v_mad_u64_u32 v[2:3], s[4:5], s7, v2, v[3:4]
	s_addc_u32 s1, s1, s3
	v_mov_b32_e32 v10, s1
	v_mov_b32_e32 v9, v2
	v_lshlrev_b64 v[2:3], 1, v[8:9]
	v_lshlrev_b32_e32 v8, 16, v6
	v_add_co_u32_e32 v2, vcc, s0, v2
	v_addc_co_u32_e32 v3, vcc, v10, v3, vcc
	flat_load_ushort v9, v[2:3]
	s_mov_b32 s0, 0x7f800000
	s_waitcnt vmcnt(0) lgkmcnt(0)
	v_lshlrev_b32_e32 v9, 16, v9
	v_mul_f32_e32 v10, v8, v9
	v_and_b32_e32 v6, 0x7f800000, v10
	v_cmp_ne_u32_e32 vcc, s0, v6
                                        ; implicit-def: $vgpr6
	s_and_saveexec_b64 s[0:1], vcc
	s_xor_b64 s[0:1], exec, s[0:1]
; %bb.6:
	v_bfe_u32 v6, v10, 16, 1
	s_movk_i32 s2, 0x7fff
	v_add3_u32 v6, v10, v6, s2
                                        ; implicit-def: $vgpr10
; %bb.7:
	s_andn2_saveexec_b64 s[0:1], s[0:1]
; %bb.8:
	v_mov_b32_e32 v6, 0
	v_or_b32_e32 v11, 0x10000, v10
	v_cmp_eq_u32_sdwa vcc, v10, v6 src0_sel:WORD_0 src1_sel:DWORD
	v_cndmask_b32_e32 v6, v11, v10, vcc
; %bb.9:
	s_or_b64 exec, exec, s[0:1]
	v_mul_f32_e32 v9, v7, v9
	s_mov_b32 s0, 0x7f800000
	v_and_b32_e32 v7, 0x7f800000, v9
	v_cmp_ne_u32_e32 vcc, s0, v7
                                        ; implicit-def: $vgpr7
	s_and_saveexec_b64 s[0:1], vcc
	s_xor_b64 s[0:1], exec, s[0:1]
; %bb.10:
	v_bfe_u32 v7, v9, 16, 1
	s_movk_i32 s2, 0x7fff
	v_add3_u32 v7, v9, v7, s2
                                        ; implicit-def: $vgpr9
; %bb.11:
	s_andn2_saveexec_b64 s[0:1], s[0:1]
; %bb.12:
	v_mov_b32_e32 v7, 0
	v_or_b32_e32 v10, 0x10000, v9
	v_cmp_eq_u32_sdwa vcc, v9, v7 src0_sel:WORD_0 src1_sel:DWORD
	v_cndmask_b32_e32 v7, v10, v9, vcc
; %bb.13:
	s_or_b64 exec, exec, s[0:1]
	v_mul_f32_e32 v5, v5, v8
	s_mov_b32 s0, 0x7f800000
	v_and_b32_e32 v8, 0x7f800000, v5
	v_cmp_ne_u32_e32 vcc, s0, v8
                                        ; implicit-def: $vgpr8
	s_and_saveexec_b64 s[0:1], vcc
	s_xor_b64 s[0:1], exec, s[0:1]
; %bb.14:
	v_bfe_u32 v8, v5, 16, 1
	s_movk_i32 s2, 0x7fff
	v_add3_u32 v8, v5, v8, s2
                                        ; implicit-def: $vgpr5
; %bb.15:
	s_andn2_saveexec_b64 s[0:1], s[0:1]
; %bb.16:
	v_mov_b32_e32 v8, 0
	v_or_b32_e32 v9, 0x10000, v5
	v_cmp_eq_u32_sdwa vcc, v5, v8 src0_sel:WORD_0 src1_sel:DWORD
	v_cndmask_b32_e32 v8, v9, v5, vcc
; %bb.17:
	s_or_b64 exec, exec, s[0:1]
	v_and_b32_e32 v5, 0xffff0000, v7
	v_and_b32_e32 v7, 0xffff0000, v8
	v_sub_f32_e32 v5, v5, v7
	s_mov_b32 s0, 0x7f800000
	v_and_b32_e32 v7, 0x7f800000, v5
	v_cmp_ne_u32_e32 vcc, s0, v7
                                        ; implicit-def: $vgpr7
	s_and_saveexec_b64 s[0:1], vcc
	s_xor_b64 s[0:1], exec, s[0:1]
; %bb.18:
	v_bfe_u32 v7, v5, 16, 1
	s_movk_i32 s2, 0x7fff
	v_add3_u32 v7, v5, v7, s2
                                        ; implicit-def: $vgpr5
; %bb.19:
	s_andn2_saveexec_b64 s[0:1], s[0:1]
; %bb.20:
	v_mov_b32_e32 v7, 0
	v_or_b32_e32 v8, 0x10000, v5
	v_cmp_eq_u32_sdwa vcc, v5, v7 src0_sel:WORD_0 src1_sel:DWORD
	v_cndmask_b32_e32 v7, v8, v5, vcc
; %bb.21:
	s_or_b64 exec, exec, s[0:1]
	v_and_b32_e32 v4, 0xffff0000, v4
	v_and_b32_e32 v5, 0xffff0000, v6
	v_add_f32_e32 v4, v4, v5
	flat_store_short_d16_hi v[2:3], v7
	s_mov_b32 s0, 0x7f800000
	v_and_b32_e32 v2, 0x7f800000, v4
	v_cmp_ne_u32_e32 vcc, s0, v2
                                        ; implicit-def: $vgpr2
	s_and_saveexec_b64 s[0:1], vcc
	s_xor_b64 s[0:1], exec, s[0:1]
; %bb.22:
	v_bfe_u32 v2, v4, 16, 1
	s_movk_i32 s2, 0x7fff
	v_add3_u32 v2, v4, v2, s2
                                        ; implicit-def: $vgpr4
; %bb.23:
	s_andn2_saveexec_b64 s[0:1], s[0:1]
; %bb.24:
	v_mov_b32_e32 v2, 0
	v_or_b32_e32 v3, 0x10000, v4
	v_cmp_eq_u32_sdwa vcc, v4, v2 src0_sel:WORD_0 src1_sel:DWORD
	v_cndmask_b32_e32 v2, v3, v4, vcc
; %bb.25:
	s_or_b64 exec, exec, s[0:1]
	flat_store_short_d16_hi v[0:1], v2
.LBB24_26:
	s_endpgm
	.section	.rodata,"a",@progbits
	.p2align	6, 0x0
	.amdhsa_kernel _ZL18rocblas_rot_kernelIiLi512EfPKP16rocblas_bfloat16S3_PKS0_S5_EviT2_lllT3_lllT4_lT5_li
		.amdhsa_group_segment_fixed_size 0
		.amdhsa_private_segment_fixed_size 0
		.amdhsa_kernarg_size 368
		.amdhsa_user_sgpr_count 6
		.amdhsa_user_sgpr_private_segment_buffer 1
		.amdhsa_user_sgpr_dispatch_ptr 0
		.amdhsa_user_sgpr_queue_ptr 0
		.amdhsa_user_sgpr_kernarg_segment_ptr 1
		.amdhsa_user_sgpr_dispatch_id 0
		.amdhsa_user_sgpr_flat_scratch_init 0
		.amdhsa_user_sgpr_private_segment_size 0
		.amdhsa_uses_dynamic_stack 0
		.amdhsa_system_sgpr_private_segment_wavefront_offset 0
		.amdhsa_system_sgpr_workgroup_id_x 1
		.amdhsa_system_sgpr_workgroup_id_y 0
		.amdhsa_system_sgpr_workgroup_id_z 1
		.amdhsa_system_sgpr_workgroup_info 0
		.amdhsa_system_vgpr_workitem_id 0
		.amdhsa_next_free_vgpr 12
		.amdhsa_next_free_sgpr 24
		.amdhsa_reserve_vcc 1
		.amdhsa_reserve_flat_scratch 0
		.amdhsa_float_round_mode_32 0
		.amdhsa_float_round_mode_16_64 0
		.amdhsa_float_denorm_mode_32 3
		.amdhsa_float_denorm_mode_16_64 3
		.amdhsa_dx10_clamp 1
		.amdhsa_ieee_mode 1
		.amdhsa_fp16_overflow 0
		.amdhsa_exception_fp_ieee_invalid_op 0
		.amdhsa_exception_fp_denorm_src 0
		.amdhsa_exception_fp_ieee_div_zero 0
		.amdhsa_exception_fp_ieee_overflow 0
		.amdhsa_exception_fp_ieee_underflow 0
		.amdhsa_exception_fp_ieee_inexact 0
		.amdhsa_exception_int_div_zero 0
	.end_amdhsa_kernel
	.section	.text._ZL18rocblas_rot_kernelIiLi512EfPKP16rocblas_bfloat16S3_PKS0_S5_EviT2_lllT3_lllT4_lT5_li,"axG",@progbits,_ZL18rocblas_rot_kernelIiLi512EfPKP16rocblas_bfloat16S3_PKS0_S5_EviT2_lllT3_lllT4_lT5_li,comdat
.Lfunc_end24:
	.size	_ZL18rocblas_rot_kernelIiLi512EfPKP16rocblas_bfloat16S3_PKS0_S5_EviT2_lllT3_lllT4_lT5_li, .Lfunc_end24-_ZL18rocblas_rot_kernelIiLi512EfPKP16rocblas_bfloat16S3_PKS0_S5_EviT2_lllT3_lllT4_lT5_li
                                        ; -- End function
	.set _ZL18rocblas_rot_kernelIiLi512EfPKP16rocblas_bfloat16S3_PKS0_S5_EviT2_lllT3_lllT4_lT5_li.num_vgpr, 12
	.set _ZL18rocblas_rot_kernelIiLi512EfPKP16rocblas_bfloat16S3_PKS0_S5_EviT2_lllT3_lllT4_lT5_li.num_agpr, 0
	.set _ZL18rocblas_rot_kernelIiLi512EfPKP16rocblas_bfloat16S3_PKS0_S5_EviT2_lllT3_lllT4_lT5_li.numbered_sgpr, 24
	.set _ZL18rocblas_rot_kernelIiLi512EfPKP16rocblas_bfloat16S3_PKS0_S5_EviT2_lllT3_lllT4_lT5_li.num_named_barrier, 0
	.set _ZL18rocblas_rot_kernelIiLi512EfPKP16rocblas_bfloat16S3_PKS0_S5_EviT2_lllT3_lllT4_lT5_li.private_seg_size, 0
	.set _ZL18rocblas_rot_kernelIiLi512EfPKP16rocblas_bfloat16S3_PKS0_S5_EviT2_lllT3_lllT4_lT5_li.uses_vcc, 1
	.set _ZL18rocblas_rot_kernelIiLi512EfPKP16rocblas_bfloat16S3_PKS0_S5_EviT2_lllT3_lllT4_lT5_li.uses_flat_scratch, 0
	.set _ZL18rocblas_rot_kernelIiLi512EfPKP16rocblas_bfloat16S3_PKS0_S5_EviT2_lllT3_lllT4_lT5_li.has_dyn_sized_stack, 0
	.set _ZL18rocblas_rot_kernelIiLi512EfPKP16rocblas_bfloat16S3_PKS0_S5_EviT2_lllT3_lllT4_lT5_li.has_recursion, 0
	.set _ZL18rocblas_rot_kernelIiLi512EfPKP16rocblas_bfloat16S3_PKS0_S5_EviT2_lllT3_lllT4_lT5_li.has_indirect_call, 0
	.section	.AMDGPU.csdata,"",@progbits
; Kernel info:
; codeLenInByte = 924
; TotalNumSgprs: 28
; NumVgprs: 12
; ScratchSize: 0
; MemoryBound: 0
; FloatMode: 240
; IeeeMode: 1
; LDSByteSize: 0 bytes/workgroup (compile time only)
; SGPRBlocks: 3
; VGPRBlocks: 2
; NumSGPRsForWavesPerEU: 28
; NumVGPRsForWavesPerEU: 12
; Occupancy: 10
; WaveLimiterHint : 1
; COMPUTE_PGM_RSRC2:SCRATCH_EN: 0
; COMPUTE_PGM_RSRC2:USER_SGPR: 6
; COMPUTE_PGM_RSRC2:TRAP_HANDLER: 0
; COMPUTE_PGM_RSRC2:TGID_X_EN: 1
; COMPUTE_PGM_RSRC2:TGID_Y_EN: 0
; COMPUTE_PGM_RSRC2:TGID_Z_EN: 1
; COMPUTE_PGM_RSRC2:TIDIG_COMP_CNT: 0
	.section	.text._ZL18rocblas_rot_kernelIiLi512EfPKP16rocblas_bfloat16S3_S0_S0_EviT2_lllT3_lllT4_lT5_li,"axG",@progbits,_ZL18rocblas_rot_kernelIiLi512EfPKP16rocblas_bfloat16S3_S0_S0_EviT2_lllT3_lllT4_lT5_li,comdat
	.globl	_ZL18rocblas_rot_kernelIiLi512EfPKP16rocblas_bfloat16S3_S0_S0_EviT2_lllT3_lllT4_lT5_li ; -- Begin function _ZL18rocblas_rot_kernelIiLi512EfPKP16rocblas_bfloat16S3_S0_S0_EviT2_lllT3_lllT4_lT5_li
	.p2align	8
	.type	_ZL18rocblas_rot_kernelIiLi512EfPKP16rocblas_bfloat16S3_S0_S0_EviT2_lllT3_lllT4_lT5_li,@function
_ZL18rocblas_rot_kernelIiLi512EfPKP16rocblas_bfloat16S3_S0_S0_EviT2_lllT3_lllT4_lT5_li: ; @_ZL18rocblas_rot_kernelIiLi512EfPKP16rocblas_bfloat16S3_S0_S0_EviT2_lllT3_lllT4_lT5_li
; %bb.0:
	s_load_dword s0, s[4:5], 0x0
	s_load_dword s2, s[4:5], 0x7c
	v_mov_b32_e32 v3, 0
	s_waitcnt lgkmcnt(0)
	s_ashr_i32 s1, s0, 31
	s_and_b32 s2, s2, 0xffff
	s_mul_i32 s6, s6, s2
	v_add_u32_e32 v2, s6, v0
	v_cmp_gt_i64_e32 vcc, s[0:1], v[2:3]
	s_and_saveexec_b64 s[0:1], vcc
	s_cbranch_execz .LBB25_26
; %bb.1:
	s_mov_b32 s8, s7
	s_load_dwordx4 s[0:3], s[4:5], 0x28
	s_load_dwordx4 s[12:15], s[4:5], 0x8
	s_load_dwordx2 s[10:11], s[4:5], 0x18
	s_load_dwordx2 s[6:7], s[4:5], 0x38
	s_mov_b32 s9, 0
	s_lshl_b64 s[8:9], s[8:9], 3
	s_waitcnt lgkmcnt(0)
	s_add_u32 s16, s0, s8
	s_addc_u32 s17, s1, s9
	v_mad_u64_u32 v[0:1], s[0:1], s10, v2, 0
	s_add_u32 s0, s12, s8
	s_addc_u32 s1, s13, s9
	s_load_dwordx2 s[0:1], s[0:1], 0x0
	v_mad_u64_u32 v[3:4], s[8:9], s11, v2, v[1:2]
	s_lshl_b64 s[8:9], s[14:15], 1
	v_mov_b32_e32 v1, v3
	s_waitcnt lgkmcnt(0)
	s_add_u32 s0, s0, s8
	v_lshlrev_b64 v[0:1], 1, v[0:1]
	s_addc_u32 s1, s1, s9
	v_mov_b32_e32 v3, s1
	v_add_co_u32_e32 v0, vcc, s0, v0
	v_addc_co_u32_e32 v1, vcc, v3, v1, vcc
	flat_load_ushort v3, v[0:1]
	s_load_dword s8, s[4:5], 0x48
	s_load_dwordx2 s[0:1], s[16:17], 0x0
	s_waitcnt lgkmcnt(0)
	s_lshl_b32 s10, s8, 16
	s_mov_b32 s8, 0x7f800000
	s_waitcnt vmcnt(0)
	v_lshlrev_b32_e32 v5, 16, v3
	v_mul_f32_e32 v3, s10, v5
	v_and_b32_e32 v4, 0x7f800000, v3
	v_cmp_ne_u32_e32 vcc, s8, v4
                                        ; implicit-def: $vgpr4
	s_and_saveexec_b64 s[8:9], vcc
	s_xor_b64 s[8:9], exec, s[8:9]
; %bb.2:
	v_bfe_u32 v4, v3, 16, 1
	s_movk_i32 s11, 0x7fff
	v_add3_u32 v4, v3, v4, s11
                                        ; implicit-def: $vgpr3
; %bb.3:
	s_andn2_saveexec_b64 s[8:9], s[8:9]
; %bb.4:
	v_mov_b32_e32 v4, 0
	v_or_b32_e32 v6, 0x10000, v3
	v_cmp_eq_u32_sdwa vcc, v3, v4 src0_sel:WORD_0 src1_sel:DWORD
	v_cndmask_b32_e32 v4, v6, v3, vcc
; %bb.5:
	s_or_b64 exec, exec, s[8:9]
	v_mad_u64_u32 v[6:7], s[8:9], s6, v2, 0
	s_lshl_b64 s[2:3], s[2:3], 1
	s_add_u32 s0, s0, s2
	v_mov_b32_e32 v3, v7
	v_mad_u64_u32 v[2:3], s[6:7], s7, v2, v[3:4]
	s_addc_u32 s1, s1, s3
	v_mov_b32_e32 v8, s1
	v_mov_b32_e32 v7, v2
	v_lshlrev_b64 v[2:3], 1, v[6:7]
	v_add_co_u32_e32 v2, vcc, s0, v2
	v_addc_co_u32_e32 v3, vcc, v8, v3, vcc
	flat_load_ushort v6, v[2:3]
	s_load_dword s0, s[4:5], 0x58
	s_waitcnt lgkmcnt(0)
	s_lshl_b32 s2, s0, 16
	s_mov_b32 s0, 0x7f800000
	s_waitcnt vmcnt(0)
	v_lshlrev_b32_e32 v7, 16, v6
	v_mul_f32_e32 v8, s2, v7
	v_and_b32_e32 v6, 0x7f800000, v8
	v_cmp_ne_u32_e32 vcc, s0, v6
                                        ; implicit-def: $vgpr6
	s_and_saveexec_b64 s[0:1], vcc
	s_xor_b64 s[0:1], exec, s[0:1]
; %bb.6:
	v_bfe_u32 v6, v8, 16, 1
	s_movk_i32 s3, 0x7fff
	v_add3_u32 v6, v8, v6, s3
                                        ; implicit-def: $vgpr8
; %bb.7:
	s_andn2_saveexec_b64 s[0:1], s[0:1]
; %bb.8:
	v_mov_b32_e32 v6, 0
	v_or_b32_e32 v9, 0x10000, v8
	v_cmp_eq_u32_sdwa vcc, v8, v6 src0_sel:WORD_0 src1_sel:DWORD
	v_cndmask_b32_e32 v6, v9, v8, vcc
; %bb.9:
	s_or_b64 exec, exec, s[0:1]
	v_mul_f32_e32 v8, s10, v7
	s_mov_b32 s0, 0x7f800000
	v_and_b32_e32 v7, 0x7f800000, v8
	v_cmp_ne_u32_e32 vcc, s0, v7
                                        ; implicit-def: $vgpr7
	s_and_saveexec_b64 s[0:1], vcc
	s_xor_b64 s[0:1], exec, s[0:1]
; %bb.10:
	v_bfe_u32 v7, v8, 16, 1
	s_movk_i32 s3, 0x7fff
	v_add3_u32 v7, v8, v7, s3
                                        ; implicit-def: $vgpr8
; %bb.11:
	s_andn2_saveexec_b64 s[0:1], s[0:1]
; %bb.12:
	v_mov_b32_e32 v7, 0
	v_or_b32_e32 v9, 0x10000, v8
	v_cmp_eq_u32_sdwa vcc, v8, v7 src0_sel:WORD_0 src1_sel:DWORD
	v_cndmask_b32_e32 v7, v9, v8, vcc
; %bb.13:
	s_or_b64 exec, exec, s[0:1]
	v_mul_f32_e32 v5, s2, v5
	s_mov_b32 s0, 0x7f800000
	v_and_b32_e32 v8, 0x7f800000, v5
	v_cmp_ne_u32_e32 vcc, s0, v8
                                        ; implicit-def: $vgpr8
	s_and_saveexec_b64 s[0:1], vcc
	s_xor_b64 s[0:1], exec, s[0:1]
; %bb.14:
	v_bfe_u32 v8, v5, 16, 1
	s_movk_i32 s2, 0x7fff
	v_add3_u32 v8, v5, v8, s2
                                        ; implicit-def: $vgpr5
; %bb.15:
	s_andn2_saveexec_b64 s[0:1], s[0:1]
; %bb.16:
	v_mov_b32_e32 v8, 0
	v_or_b32_e32 v9, 0x10000, v5
	v_cmp_eq_u32_sdwa vcc, v5, v8 src0_sel:WORD_0 src1_sel:DWORD
	v_cndmask_b32_e32 v8, v9, v5, vcc
; %bb.17:
	s_or_b64 exec, exec, s[0:1]
	v_and_b32_e32 v5, 0xffff0000, v7
	v_and_b32_e32 v7, 0xffff0000, v8
	v_sub_f32_e32 v5, v5, v7
	s_mov_b32 s0, 0x7f800000
	v_and_b32_e32 v7, 0x7f800000, v5
	v_cmp_ne_u32_e32 vcc, s0, v7
                                        ; implicit-def: $vgpr7
	s_and_saveexec_b64 s[0:1], vcc
	s_xor_b64 s[0:1], exec, s[0:1]
; %bb.18:
	v_bfe_u32 v7, v5, 16, 1
	s_movk_i32 s2, 0x7fff
	v_add3_u32 v7, v5, v7, s2
                                        ; implicit-def: $vgpr5
; %bb.19:
	s_andn2_saveexec_b64 s[0:1], s[0:1]
; %bb.20:
	v_mov_b32_e32 v7, 0
	v_or_b32_e32 v8, 0x10000, v5
	v_cmp_eq_u32_sdwa vcc, v5, v7 src0_sel:WORD_0 src1_sel:DWORD
	v_cndmask_b32_e32 v7, v8, v5, vcc
; %bb.21:
	s_or_b64 exec, exec, s[0:1]
	v_and_b32_e32 v4, 0xffff0000, v4
	v_and_b32_e32 v5, 0xffff0000, v6
	v_add_f32_e32 v4, v4, v5
	flat_store_short_d16_hi v[2:3], v7
	s_mov_b32 s0, 0x7f800000
	v_and_b32_e32 v2, 0x7f800000, v4
	v_cmp_ne_u32_e32 vcc, s0, v2
                                        ; implicit-def: $vgpr2
	s_and_saveexec_b64 s[0:1], vcc
	s_xor_b64 s[0:1], exec, s[0:1]
; %bb.22:
	v_bfe_u32 v2, v4, 16, 1
	s_movk_i32 s2, 0x7fff
	v_add3_u32 v2, v4, v2, s2
                                        ; implicit-def: $vgpr4
; %bb.23:
	s_andn2_saveexec_b64 s[0:1], s[0:1]
; %bb.24:
	v_mov_b32_e32 v2, 0
	v_or_b32_e32 v3, 0x10000, v4
	v_cmp_eq_u32_sdwa vcc, v4, v2 src0_sel:WORD_0 src1_sel:DWORD
	v_cndmask_b32_e32 v2, v3, v4, vcc
; %bb.25:
	s_or_b64 exec, exec, s[0:1]
	flat_store_short_d16_hi v[0:1], v2
.LBB25_26:
	s_endpgm
	.section	.rodata,"a",@progbits
	.p2align	6, 0x0
	.amdhsa_kernel _ZL18rocblas_rot_kernelIiLi512EfPKP16rocblas_bfloat16S3_S0_S0_EviT2_lllT3_lllT4_lT5_li
		.amdhsa_group_segment_fixed_size 0
		.amdhsa_private_segment_fixed_size 0
		.amdhsa_kernarg_size 368
		.amdhsa_user_sgpr_count 6
		.amdhsa_user_sgpr_private_segment_buffer 1
		.amdhsa_user_sgpr_dispatch_ptr 0
		.amdhsa_user_sgpr_queue_ptr 0
		.amdhsa_user_sgpr_kernarg_segment_ptr 1
		.amdhsa_user_sgpr_dispatch_id 0
		.amdhsa_user_sgpr_flat_scratch_init 0
		.amdhsa_user_sgpr_private_segment_size 0
		.amdhsa_uses_dynamic_stack 0
		.amdhsa_system_sgpr_private_segment_wavefront_offset 0
		.amdhsa_system_sgpr_workgroup_id_x 1
		.amdhsa_system_sgpr_workgroup_id_y 0
		.amdhsa_system_sgpr_workgroup_id_z 1
		.amdhsa_system_sgpr_workgroup_info 0
		.amdhsa_system_vgpr_workitem_id 0
		.amdhsa_next_free_vgpr 10
		.amdhsa_next_free_sgpr 18
		.amdhsa_reserve_vcc 1
		.amdhsa_reserve_flat_scratch 0
		.amdhsa_float_round_mode_32 0
		.amdhsa_float_round_mode_16_64 0
		.amdhsa_float_denorm_mode_32 3
		.amdhsa_float_denorm_mode_16_64 3
		.amdhsa_dx10_clamp 1
		.amdhsa_ieee_mode 1
		.amdhsa_fp16_overflow 0
		.amdhsa_exception_fp_ieee_invalid_op 0
		.amdhsa_exception_fp_denorm_src 0
		.amdhsa_exception_fp_ieee_div_zero 0
		.amdhsa_exception_fp_ieee_overflow 0
		.amdhsa_exception_fp_ieee_underflow 0
		.amdhsa_exception_fp_ieee_inexact 0
		.amdhsa_exception_int_div_zero 0
	.end_amdhsa_kernel
	.section	.text._ZL18rocblas_rot_kernelIiLi512EfPKP16rocblas_bfloat16S3_S0_S0_EviT2_lllT3_lllT4_lT5_li,"axG",@progbits,_ZL18rocblas_rot_kernelIiLi512EfPKP16rocblas_bfloat16S3_S0_S0_EviT2_lllT3_lllT4_lT5_li,comdat
.Lfunc_end25:
	.size	_ZL18rocblas_rot_kernelIiLi512EfPKP16rocblas_bfloat16S3_S0_S0_EviT2_lllT3_lllT4_lT5_li, .Lfunc_end25-_ZL18rocblas_rot_kernelIiLi512EfPKP16rocblas_bfloat16S3_S0_S0_EviT2_lllT3_lllT4_lT5_li
                                        ; -- End function
	.set _ZL18rocblas_rot_kernelIiLi512EfPKP16rocblas_bfloat16S3_S0_S0_EviT2_lllT3_lllT4_lT5_li.num_vgpr, 10
	.set _ZL18rocblas_rot_kernelIiLi512EfPKP16rocblas_bfloat16S3_S0_S0_EviT2_lllT3_lllT4_lT5_li.num_agpr, 0
	.set _ZL18rocblas_rot_kernelIiLi512EfPKP16rocblas_bfloat16S3_S0_S0_EviT2_lllT3_lllT4_lT5_li.numbered_sgpr, 18
	.set _ZL18rocblas_rot_kernelIiLi512EfPKP16rocblas_bfloat16S3_S0_S0_EviT2_lllT3_lllT4_lT5_li.num_named_barrier, 0
	.set _ZL18rocblas_rot_kernelIiLi512EfPKP16rocblas_bfloat16S3_S0_S0_EviT2_lllT3_lllT4_lT5_li.private_seg_size, 0
	.set _ZL18rocblas_rot_kernelIiLi512EfPKP16rocblas_bfloat16S3_S0_S0_EviT2_lllT3_lllT4_lT5_li.uses_vcc, 1
	.set _ZL18rocblas_rot_kernelIiLi512EfPKP16rocblas_bfloat16S3_S0_S0_EviT2_lllT3_lllT4_lT5_li.uses_flat_scratch, 0
	.set _ZL18rocblas_rot_kernelIiLi512EfPKP16rocblas_bfloat16S3_S0_S0_EviT2_lllT3_lllT4_lT5_li.has_dyn_sized_stack, 0
	.set _ZL18rocblas_rot_kernelIiLi512EfPKP16rocblas_bfloat16S3_S0_S0_EviT2_lllT3_lllT4_lT5_li.has_recursion, 0
	.set _ZL18rocblas_rot_kernelIiLi512EfPKP16rocblas_bfloat16S3_S0_S0_EviT2_lllT3_lllT4_lT5_li.has_indirect_call, 0
	.section	.AMDGPU.csdata,"",@progbits
; Kernel info:
; codeLenInByte = 868
; TotalNumSgprs: 22
; NumVgprs: 10
; ScratchSize: 0
; MemoryBound: 0
; FloatMode: 240
; IeeeMode: 1
; LDSByteSize: 0 bytes/workgroup (compile time only)
; SGPRBlocks: 2
; VGPRBlocks: 2
; NumSGPRsForWavesPerEU: 22
; NumVGPRsForWavesPerEU: 10
; Occupancy: 10
; WaveLimiterHint : 1
; COMPUTE_PGM_RSRC2:SCRATCH_EN: 0
; COMPUTE_PGM_RSRC2:USER_SGPR: 6
; COMPUTE_PGM_RSRC2:TRAP_HANDLER: 0
; COMPUTE_PGM_RSRC2:TGID_X_EN: 1
; COMPUTE_PGM_RSRC2:TGID_Y_EN: 0
; COMPUTE_PGM_RSRC2:TGID_Z_EN: 1
; COMPUTE_PGM_RSRC2:TIDIG_COMP_CNT: 0
	.section	.text._ZL18rocblas_rot_kernelIiLi512EfPKPDF16_S2_PKDF16_S4_EviT2_lllT3_lllT4_lT5_li,"axG",@progbits,_ZL18rocblas_rot_kernelIiLi512EfPKPDF16_S2_PKDF16_S4_EviT2_lllT3_lllT4_lT5_li,comdat
	.globl	_ZL18rocblas_rot_kernelIiLi512EfPKPDF16_S2_PKDF16_S4_EviT2_lllT3_lllT4_lT5_li ; -- Begin function _ZL18rocblas_rot_kernelIiLi512EfPKPDF16_S2_PKDF16_S4_EviT2_lllT3_lllT4_lT5_li
	.p2align	8
	.type	_ZL18rocblas_rot_kernelIiLi512EfPKPDF16_S2_PKDF16_S4_EviT2_lllT3_lllT4_lT5_li,@function
_ZL18rocblas_rot_kernelIiLi512EfPKPDF16_S2_PKDF16_S4_EviT2_lllT3_lllT4_lT5_li: ; @_ZL18rocblas_rot_kernelIiLi512EfPKPDF16_S2_PKDF16_S4_EviT2_lllT3_lllT4_lT5_li
; %bb.0:
	s_load_dword s2, s[4:5], 0x0
	s_load_dword s1, s[4:5], 0x7c
	v_mov_b32_e32 v1, 0
	s_waitcnt lgkmcnt(0)
	s_ashr_i32 s3, s2, 31
	s_and_b32 s1, s1, 0xffff
	s_mul_i32 s6, s6, s1
	v_add_u32_e32 v0, s6, v0
	v_cmp_gt_i64_e32 vcc, s[2:3], v[0:1]
	s_and_saveexec_b64 s[2:3], vcc
	s_cbranch_execz .LBB26_2
; %bb.1:
	s_load_dwordx4 s[16:19], s[4:5], 0x28
	s_load_dwordx2 s[2:3], s[4:5], 0x38
	s_mov_b32 s0, s7
	s_mov_b32 s1, 0
	s_lshl_b64 s[6:7], s[0:1], 3
	s_waitcnt lgkmcnt(0)
	s_add_u32 s16, s16, s6
	s_addc_u32 s17, s17, s7
	s_load_dwordx2 s[24:25], s[16:17], 0x0
	s_load_dwordx4 s[20:23], s[4:5], 0x8
	s_load_dwordx2 s[26:27], s[4:5], 0x18
	s_load_dwordx8 s[8:15], s[4:5], 0x48
	s_lshl_b64 s[4:5], s[18:19], 1
	s_waitcnt lgkmcnt(0)
	s_add_u32 s16, s24, s4
	s_addc_u32 s17, s25, s5
	s_add_u32 s4, s20, s6
	s_addc_u32 s5, s21, s7
	s_load_dwordx2 s[4:5], s[4:5], 0x0
	s_mul_i32 s1, s15, s0
	s_mul_hi_u32 s7, s14, s0
	s_mul_i32 s6, s14, s0
	s_lshl_b64 s[14:15], s[22:23], 1
	s_waitcnt lgkmcnt(0)
	s_add_u32 s14, s4, s14
	s_addc_u32 s15, s5, s15
	s_add_i32 s7, s7, s1
	s_lshl_b64 s[4:5], s[6:7], 1
	s_add_u32 s4, s12, s4
	s_addc_u32 s5, s13, s5
	global_load_ushort v9, v1, s[4:5]
	s_mul_i32 s1, s11, s0
	s_mul_hi_u32 s4, s10, s0
	s_add_i32 s1, s4, s1
	v_mad_u64_u32 v[2:3], s[4:5], s26, v0, 0
	v_mad_u64_u32 v[4:5], s[4:5], s2, v0, 0
	s_mul_i32 s0, s10, s0
	s_lshl_b64 s[0:1], s[0:1], 1
	v_mad_u64_u32 v[6:7], s[4:5], s27, v0, v[3:4]
	v_mov_b32_e32 v3, v5
	v_mad_u64_u32 v[7:8], s[2:3], s3, v0, v[3:4]
	v_mov_b32_e32 v3, v6
	v_lshlrev_b64 v[2:3], 1, v[2:3]
	v_mov_b32_e32 v5, v7
	v_mov_b32_e32 v0, s15
	v_add_co_u32_e32 v2, vcc, s14, v2
	v_lshlrev_b64 v[4:5], 1, v[4:5]
	v_addc_co_u32_e32 v3, vcc, v0, v3, vcc
	v_mov_b32_e32 v0, s17
	v_add_co_u32_e32 v4, vcc, s16, v4
	s_add_u32 s0, s8, s0
	v_addc_co_u32_e32 v5, vcc, v0, v5, vcc
	s_addc_u32 s1, s9, s1
	flat_load_ushort v0, v[4:5]
	flat_load_ushort v6, v[2:3]
	global_load_ushort v7, v1, s[0:1]
	s_waitcnt vmcnt(0) lgkmcnt(0)
	v_mul_f16_e32 v1, v9, v0
	v_mul_f16_e32 v8, v9, v6
	v_fma_f16 v0, v7, v0, -v8
	v_fma_f16 v1, v7, v6, v1
	flat_store_short v[4:5], v0
	flat_store_short v[2:3], v1
.LBB26_2:
	s_endpgm
	.section	.rodata,"a",@progbits
	.p2align	6, 0x0
	.amdhsa_kernel _ZL18rocblas_rot_kernelIiLi512EfPKPDF16_S2_PKDF16_S4_EviT2_lllT3_lllT4_lT5_li
		.amdhsa_group_segment_fixed_size 0
		.amdhsa_private_segment_fixed_size 0
		.amdhsa_kernarg_size 368
		.amdhsa_user_sgpr_count 6
		.amdhsa_user_sgpr_private_segment_buffer 1
		.amdhsa_user_sgpr_dispatch_ptr 0
		.amdhsa_user_sgpr_queue_ptr 0
		.amdhsa_user_sgpr_kernarg_segment_ptr 1
		.amdhsa_user_sgpr_dispatch_id 0
		.amdhsa_user_sgpr_flat_scratch_init 0
		.amdhsa_user_sgpr_private_segment_size 0
		.amdhsa_uses_dynamic_stack 0
		.amdhsa_system_sgpr_private_segment_wavefront_offset 0
		.amdhsa_system_sgpr_workgroup_id_x 1
		.amdhsa_system_sgpr_workgroup_id_y 0
		.amdhsa_system_sgpr_workgroup_id_z 1
		.amdhsa_system_sgpr_workgroup_info 0
		.amdhsa_system_vgpr_workitem_id 0
		.amdhsa_next_free_vgpr 10
		.amdhsa_next_free_sgpr 28
		.amdhsa_reserve_vcc 1
		.amdhsa_reserve_flat_scratch 0
		.amdhsa_float_round_mode_32 0
		.amdhsa_float_round_mode_16_64 0
		.amdhsa_float_denorm_mode_32 3
		.amdhsa_float_denorm_mode_16_64 3
		.amdhsa_dx10_clamp 1
		.amdhsa_ieee_mode 1
		.amdhsa_fp16_overflow 0
		.amdhsa_exception_fp_ieee_invalid_op 0
		.amdhsa_exception_fp_denorm_src 0
		.amdhsa_exception_fp_ieee_div_zero 0
		.amdhsa_exception_fp_ieee_overflow 0
		.amdhsa_exception_fp_ieee_underflow 0
		.amdhsa_exception_fp_ieee_inexact 0
		.amdhsa_exception_int_div_zero 0
	.end_amdhsa_kernel
	.section	.text._ZL18rocblas_rot_kernelIiLi512EfPKPDF16_S2_PKDF16_S4_EviT2_lllT3_lllT4_lT5_li,"axG",@progbits,_ZL18rocblas_rot_kernelIiLi512EfPKPDF16_S2_PKDF16_S4_EviT2_lllT3_lllT4_lT5_li,comdat
.Lfunc_end26:
	.size	_ZL18rocblas_rot_kernelIiLi512EfPKPDF16_S2_PKDF16_S4_EviT2_lllT3_lllT4_lT5_li, .Lfunc_end26-_ZL18rocblas_rot_kernelIiLi512EfPKPDF16_S2_PKDF16_S4_EviT2_lllT3_lllT4_lT5_li
                                        ; -- End function
	.set _ZL18rocblas_rot_kernelIiLi512EfPKPDF16_S2_PKDF16_S4_EviT2_lllT3_lllT4_lT5_li.num_vgpr, 10
	.set _ZL18rocblas_rot_kernelIiLi512EfPKPDF16_S2_PKDF16_S4_EviT2_lllT3_lllT4_lT5_li.num_agpr, 0
	.set _ZL18rocblas_rot_kernelIiLi512EfPKPDF16_S2_PKDF16_S4_EviT2_lllT3_lllT4_lT5_li.numbered_sgpr, 28
	.set _ZL18rocblas_rot_kernelIiLi512EfPKPDF16_S2_PKDF16_S4_EviT2_lllT3_lllT4_lT5_li.num_named_barrier, 0
	.set _ZL18rocblas_rot_kernelIiLi512EfPKPDF16_S2_PKDF16_S4_EviT2_lllT3_lllT4_lT5_li.private_seg_size, 0
	.set _ZL18rocblas_rot_kernelIiLi512EfPKPDF16_S2_PKDF16_S4_EviT2_lllT3_lllT4_lT5_li.uses_vcc, 1
	.set _ZL18rocblas_rot_kernelIiLi512EfPKPDF16_S2_PKDF16_S4_EviT2_lllT3_lllT4_lT5_li.uses_flat_scratch, 0
	.set _ZL18rocblas_rot_kernelIiLi512EfPKPDF16_S2_PKDF16_S4_EviT2_lllT3_lllT4_lT5_li.has_dyn_sized_stack, 0
	.set _ZL18rocblas_rot_kernelIiLi512EfPKPDF16_S2_PKDF16_S4_EviT2_lllT3_lllT4_lT5_li.has_recursion, 0
	.set _ZL18rocblas_rot_kernelIiLi512EfPKPDF16_S2_PKDF16_S4_EviT2_lllT3_lllT4_lT5_li.has_indirect_call, 0
	.section	.AMDGPU.csdata,"",@progbits
; Kernel info:
; codeLenInByte = 396
; TotalNumSgprs: 32
; NumVgprs: 10
; ScratchSize: 0
; MemoryBound: 0
; FloatMode: 240
; IeeeMode: 1
; LDSByteSize: 0 bytes/workgroup (compile time only)
; SGPRBlocks: 3
; VGPRBlocks: 2
; NumSGPRsForWavesPerEU: 32
; NumVGPRsForWavesPerEU: 10
; Occupancy: 10
; WaveLimiterHint : 1
; COMPUTE_PGM_RSRC2:SCRATCH_EN: 0
; COMPUTE_PGM_RSRC2:USER_SGPR: 6
; COMPUTE_PGM_RSRC2:TRAP_HANDLER: 0
; COMPUTE_PGM_RSRC2:TGID_X_EN: 1
; COMPUTE_PGM_RSRC2:TGID_Y_EN: 0
; COMPUTE_PGM_RSRC2:TGID_Z_EN: 1
; COMPUTE_PGM_RSRC2:TIDIG_COMP_CNT: 0
	.section	.text._ZL18rocblas_rot_kernelIiLi512EfPKPDF16_S2_DF16_DF16_EviT2_lllT3_lllT4_lT5_li,"axG",@progbits,_ZL18rocblas_rot_kernelIiLi512EfPKPDF16_S2_DF16_DF16_EviT2_lllT3_lllT4_lT5_li,comdat
	.globl	_ZL18rocblas_rot_kernelIiLi512EfPKPDF16_S2_DF16_DF16_EviT2_lllT3_lllT4_lT5_li ; -- Begin function _ZL18rocblas_rot_kernelIiLi512EfPKPDF16_S2_DF16_DF16_EviT2_lllT3_lllT4_lT5_li
	.p2align	8
	.type	_ZL18rocblas_rot_kernelIiLi512EfPKPDF16_S2_DF16_DF16_EviT2_lllT3_lllT4_lT5_li,@function
_ZL18rocblas_rot_kernelIiLi512EfPKPDF16_S2_DF16_DF16_EviT2_lllT3_lllT4_lT5_li: ; @_ZL18rocblas_rot_kernelIiLi512EfPKPDF16_S2_DF16_DF16_EviT2_lllT3_lllT4_lT5_li
; %bb.0:
	s_load_dword s2, s[4:5], 0x0
	s_load_dword s1, s[4:5], 0x7c
	v_mov_b32_e32 v1, 0
	s_waitcnt lgkmcnt(0)
	s_ashr_i32 s3, s2, 31
	s_and_b32 s1, s1, 0xffff
	s_mul_i32 s6, s6, s1
	v_add_u32_e32 v0, s6, v0
	v_cmp_gt_i64_e32 vcc, s[2:3], v[0:1]
	s_and_saveexec_b64 s[2:3], vcc
	s_cbranch_execz .LBB27_2
; %bb.1:
	s_mov_b32 s0, s7
	s_load_dwordx4 s[8:11], s[4:5], 0x28
	s_load_dwordx2 s[6:7], s[4:5], 0x18
	s_load_dwordx2 s[12:13], s[4:5], 0x38
	s_mov_b32 s1, 0
	s_lshl_b64 s[14:15], s[0:1], 3
	s_waitcnt lgkmcnt(0)
	s_add_u32 s8, s8, s14
	s_addc_u32 s9, s9, s15
	s_load_dwordx2 s[16:17], s[8:9], 0x0
	s_load_dwordx4 s[0:3], s[4:5], 0x8
	v_mad_u64_u32 v[1:2], s[8:9], s6, v0, 0
	s_lshl_b64 s[8:9], s[10:11], 1
	s_waitcnt lgkmcnt(0)
	s_add_u32 s10, s16, s8
	s_addc_u32 s11, s17, s9
	v_mad_u64_u32 v[3:4], s[8:9], s12, v0, 0
	s_add_u32 s0, s0, s14
	s_addc_u32 s1, s1, s15
	s_load_dwordx2 s[0:1], s[0:1], 0x0
	v_mad_u64_u32 v[5:6], s[6:7], s7, v0, v[2:3]
	v_mov_b32_e32 v2, v4
	v_mad_u64_u32 v[6:7], s[6:7], s13, v0, v[2:3]
	s_lshl_b64 s[2:3], s[2:3], 1
	v_mov_b32_e32 v2, v5
	s_waitcnt lgkmcnt(0)
	s_add_u32 s0, s0, s2
	v_lshlrev_b64 v[0:1], 1, v[1:2]
	s_addc_u32 s1, s1, s3
	v_mov_b32_e32 v4, v6
	v_mov_b32_e32 v2, s1
	v_add_co_u32_e32 v0, vcc, s0, v0
	v_addc_co_u32_e32 v1, vcc, v2, v1, vcc
	v_lshlrev_b64 v[2:3], 1, v[3:4]
	v_mov_b32_e32 v4, s11
	v_add_co_u32_e32 v2, vcc, s10, v2
	v_addc_co_u32_e32 v3, vcc, v4, v3, vcc
	flat_load_ushort v4, v[2:3]
	flat_load_ushort v5, v[0:1]
	s_load_dword s0, s[4:5], 0x58
	s_load_dword s1, s[4:5], 0x48
	s_waitcnt vmcnt(0) lgkmcnt(0)
	v_mul_f16_e32 v6, s0, v4
	v_mul_f16_e32 v7, s0, v5
	v_fma_f16 v4, s1, v4, -v7
	v_fma_f16 v5, s1, v5, v6
	flat_store_short v[2:3], v4
	flat_store_short v[0:1], v5
.LBB27_2:
	s_endpgm
	.section	.rodata,"a",@progbits
	.p2align	6, 0x0
	.amdhsa_kernel _ZL18rocblas_rot_kernelIiLi512EfPKPDF16_S2_DF16_DF16_EviT2_lllT3_lllT4_lT5_li
		.amdhsa_group_segment_fixed_size 0
		.amdhsa_private_segment_fixed_size 0
		.amdhsa_kernarg_size 368
		.amdhsa_user_sgpr_count 6
		.amdhsa_user_sgpr_private_segment_buffer 1
		.amdhsa_user_sgpr_dispatch_ptr 0
		.amdhsa_user_sgpr_queue_ptr 0
		.amdhsa_user_sgpr_kernarg_segment_ptr 1
		.amdhsa_user_sgpr_dispatch_id 0
		.amdhsa_user_sgpr_flat_scratch_init 0
		.amdhsa_user_sgpr_private_segment_size 0
		.amdhsa_uses_dynamic_stack 0
		.amdhsa_system_sgpr_private_segment_wavefront_offset 0
		.amdhsa_system_sgpr_workgroup_id_x 1
		.amdhsa_system_sgpr_workgroup_id_y 0
		.amdhsa_system_sgpr_workgroup_id_z 1
		.amdhsa_system_sgpr_workgroup_info 0
		.amdhsa_system_vgpr_workitem_id 0
		.amdhsa_next_free_vgpr 8
		.amdhsa_next_free_sgpr 18
		.amdhsa_reserve_vcc 1
		.amdhsa_reserve_flat_scratch 0
		.amdhsa_float_round_mode_32 0
		.amdhsa_float_round_mode_16_64 0
		.amdhsa_float_denorm_mode_32 3
		.amdhsa_float_denorm_mode_16_64 3
		.amdhsa_dx10_clamp 1
		.amdhsa_ieee_mode 1
		.amdhsa_fp16_overflow 0
		.amdhsa_exception_fp_ieee_invalid_op 0
		.amdhsa_exception_fp_denorm_src 0
		.amdhsa_exception_fp_ieee_div_zero 0
		.amdhsa_exception_fp_ieee_overflow 0
		.amdhsa_exception_fp_ieee_underflow 0
		.amdhsa_exception_fp_ieee_inexact 0
		.amdhsa_exception_int_div_zero 0
	.end_amdhsa_kernel
	.section	.text._ZL18rocblas_rot_kernelIiLi512EfPKPDF16_S2_DF16_DF16_EviT2_lllT3_lllT4_lT5_li,"axG",@progbits,_ZL18rocblas_rot_kernelIiLi512EfPKPDF16_S2_DF16_DF16_EviT2_lllT3_lllT4_lT5_li,comdat
.Lfunc_end27:
	.size	_ZL18rocblas_rot_kernelIiLi512EfPKPDF16_S2_DF16_DF16_EviT2_lllT3_lllT4_lT5_li, .Lfunc_end27-_ZL18rocblas_rot_kernelIiLi512EfPKPDF16_S2_DF16_DF16_EviT2_lllT3_lllT4_lT5_li
                                        ; -- End function
	.set _ZL18rocblas_rot_kernelIiLi512EfPKPDF16_S2_DF16_DF16_EviT2_lllT3_lllT4_lT5_li.num_vgpr, 8
	.set _ZL18rocblas_rot_kernelIiLi512EfPKPDF16_S2_DF16_DF16_EviT2_lllT3_lllT4_lT5_li.num_agpr, 0
	.set _ZL18rocblas_rot_kernelIiLi512EfPKPDF16_S2_DF16_DF16_EviT2_lllT3_lllT4_lT5_li.numbered_sgpr, 18
	.set _ZL18rocblas_rot_kernelIiLi512EfPKPDF16_S2_DF16_DF16_EviT2_lllT3_lllT4_lT5_li.num_named_barrier, 0
	.set _ZL18rocblas_rot_kernelIiLi512EfPKPDF16_S2_DF16_DF16_EviT2_lllT3_lllT4_lT5_li.private_seg_size, 0
	.set _ZL18rocblas_rot_kernelIiLi512EfPKPDF16_S2_DF16_DF16_EviT2_lllT3_lllT4_lT5_li.uses_vcc, 1
	.set _ZL18rocblas_rot_kernelIiLi512EfPKPDF16_S2_DF16_DF16_EviT2_lllT3_lllT4_lT5_li.uses_flat_scratch, 0
	.set _ZL18rocblas_rot_kernelIiLi512EfPKPDF16_S2_DF16_DF16_EviT2_lllT3_lllT4_lT5_li.has_dyn_sized_stack, 0
	.set _ZL18rocblas_rot_kernelIiLi512EfPKPDF16_S2_DF16_DF16_EviT2_lllT3_lllT4_lT5_li.has_recursion, 0
	.set _ZL18rocblas_rot_kernelIiLi512EfPKPDF16_S2_DF16_DF16_EviT2_lllT3_lllT4_lT5_li.has_indirect_call, 0
	.section	.AMDGPU.csdata,"",@progbits
; Kernel info:
; codeLenInByte = 332
; TotalNumSgprs: 22
; NumVgprs: 8
; ScratchSize: 0
; MemoryBound: 0
; FloatMode: 240
; IeeeMode: 1
; LDSByteSize: 0 bytes/workgroup (compile time only)
; SGPRBlocks: 2
; VGPRBlocks: 1
; NumSGPRsForWavesPerEU: 22
; NumVGPRsForWavesPerEU: 8
; Occupancy: 10
; WaveLimiterHint : 1
; COMPUTE_PGM_RSRC2:SCRATCH_EN: 0
; COMPUTE_PGM_RSRC2:USER_SGPR: 6
; COMPUTE_PGM_RSRC2:TRAP_HANDLER: 0
; COMPUTE_PGM_RSRC2:TGID_X_EN: 1
; COMPUTE_PGM_RSRC2:TGID_Y_EN: 0
; COMPUTE_PGM_RSRC2:TGID_Z_EN: 1
; COMPUTE_PGM_RSRC2:TIDIG_COMP_CNT: 0
	.section	.text._ZL18rocblas_rot_kernelIiLi512E19rocblas_complex_numIfEPKPS1_S4_PKfS6_EviT2_lllT3_lllT4_lT5_li,"axG",@progbits,_ZL18rocblas_rot_kernelIiLi512E19rocblas_complex_numIfEPKPS1_S4_PKfS6_EviT2_lllT3_lllT4_lT5_li,comdat
	.globl	_ZL18rocblas_rot_kernelIiLi512E19rocblas_complex_numIfEPKPS1_S4_PKfS6_EviT2_lllT3_lllT4_lT5_li ; -- Begin function _ZL18rocblas_rot_kernelIiLi512E19rocblas_complex_numIfEPKPS1_S4_PKfS6_EviT2_lllT3_lllT4_lT5_li
	.p2align	8
	.type	_ZL18rocblas_rot_kernelIiLi512E19rocblas_complex_numIfEPKPS1_S4_PKfS6_EviT2_lllT3_lllT4_lT5_li,@function
_ZL18rocblas_rot_kernelIiLi512E19rocblas_complex_numIfEPKPS1_S4_PKfS6_EviT2_lllT3_lllT4_lT5_li: ; @_ZL18rocblas_rot_kernelIiLi512E19rocblas_complex_numIfEPKPS1_S4_PKfS6_EviT2_lllT3_lllT4_lT5_li
; %bb.0:
	s_load_dword s0, s[4:5], 0x0
	s_load_dword s2, s[4:5], 0x7c
	v_mov_b32_e32 v1, 0
	s_waitcnt lgkmcnt(0)
	s_ashr_i32 s1, s0, 31
	s_and_b32 s2, s2, 0xffff
	s_mul_i32 s6, s6, s2
	v_add_u32_e32 v0, s6, v0
	v_cmp_gt_i64_e32 vcc, s[0:1], v[0:1]
	s_and_saveexec_b64 s[0:1], vcc
	s_cbranch_execz .LBB28_2
; %bb.1:
	s_mov_b32 s8, s7
	s_load_dwordx4 s[0:3], s[4:5], 0x28
	s_load_dwordx2 s[6:7], s[4:5], 0x18
	s_load_dwordx2 s[10:11], s[4:5], 0x38
	s_mov_b32 s9, 0
	s_lshl_b64 s[16:17], s[8:9], 3
	s_waitcnt lgkmcnt(0)
	s_add_u32 s0, s0, s16
	s_addc_u32 s1, s1, s17
	s_load_dwordx2 s[18:19], s[0:1], 0x0
	s_load_dwordx4 s[12:15], s[4:5], 0x8
	v_mad_u64_u32 v[1:2], s[0:1], s6, v0, 0
	s_lshl_b64 s[0:1], s[2:3], 3
	s_waitcnt lgkmcnt(0)
	s_add_u32 s9, s18, s0
	s_addc_u32 s18, s19, s1
	s_add_u32 s0, s12, s16
	s_addc_u32 s1, s13, s17
	v_mad_u64_u32 v[3:4], s[12:13], s10, v0, 0
	s_load_dwordx2 s[0:1], s[0:1], 0x0
	s_lshl_b64 s[2:3], s[14:15], 3
	v_mad_u64_u32 v[5:6], s[6:7], s7, v0, v[2:3]
	v_mov_b32_e32 v2, v4
	v_mad_u64_u32 v[6:7], s[6:7], s11, v0, v[2:3]
	v_mov_b32_e32 v2, v5
	v_lshlrev_b64 v[0:1], 3, v[1:2]
	v_mov_b32_e32 v4, v6
	v_lshlrev_b64 v[2:3], 3, v[3:4]
	s_waitcnt lgkmcnt(0)
	s_add_u32 s0, s0, s2
	v_mov_b32_e32 v4, s18
	v_add_co_u32_e32 v2, vcc, s9, v2
	s_addc_u32 s1, s1, s3
	v_addc_co_u32_e32 v3, vcc, v4, v3, vcc
	v_mov_b32_e32 v6, s1
	v_add_co_u32_e32 v0, vcc, s0, v0
	flat_load_dwordx2 v[4:5], v[2:3]
	v_addc_co_u32_e32 v1, vcc, v6, v1, vcc
	flat_load_dwordx2 v[6:7], v[0:1]
	s_load_dwordx8 s[12:19], s[4:5], 0x48
	s_waitcnt lgkmcnt(0)
	s_mul_i32 s1, s19, s8
	s_mul_hi_u32 s3, s18, s8
	s_mul_i32 s0, s18, s8
	s_add_i32 s1, s3, s1
	s_lshl_b64 s[0:1], s[0:1], 2
	s_mul_i32 s4, s15, s8
	s_mul_hi_u32 s5, s14, s8
	s_add_u32 s0, s16, s0
	s_mul_i32 s2, s14, s8
	s_addc_u32 s1, s17, s1
	s_add_i32 s3, s5, s4
	s_load_dword s4, s[0:1], 0x0
	s_lshl_b64 s[0:1], s[2:3], 2
	s_add_u32 s0, s12, s0
	s_addc_u32 s1, s13, s1
	s_load_dword s0, s[0:1], 0x0
	s_waitcnt vmcnt(0) lgkmcnt(0)
	v_mul_f32_e32 v8, s4, v4
	v_mul_f32_e32 v9, s4, v5
	v_fmac_f32_e32 v8, s0, v6
	v_fmac_f32_e32 v9, s0, v7
	v_mul_f32_e32 v6, s4, v6
	v_mul_f32_e32 v7, s4, v7
	v_fma_f32 v4, s0, v4, -v6
	v_fma_f32 v5, s0, v5, -v7
	flat_store_dwordx2 v[2:3], v[4:5]
	flat_store_dwordx2 v[0:1], v[8:9]
.LBB28_2:
	s_endpgm
	.section	.rodata,"a",@progbits
	.p2align	6, 0x0
	.amdhsa_kernel _ZL18rocblas_rot_kernelIiLi512E19rocblas_complex_numIfEPKPS1_S4_PKfS6_EviT2_lllT3_lllT4_lT5_li
		.amdhsa_group_segment_fixed_size 0
		.amdhsa_private_segment_fixed_size 0
		.amdhsa_kernarg_size 368
		.amdhsa_user_sgpr_count 6
		.amdhsa_user_sgpr_private_segment_buffer 1
		.amdhsa_user_sgpr_dispatch_ptr 0
		.amdhsa_user_sgpr_queue_ptr 0
		.amdhsa_user_sgpr_kernarg_segment_ptr 1
		.amdhsa_user_sgpr_dispatch_id 0
		.amdhsa_user_sgpr_flat_scratch_init 0
		.amdhsa_user_sgpr_private_segment_size 0
		.amdhsa_uses_dynamic_stack 0
		.amdhsa_system_sgpr_private_segment_wavefront_offset 0
		.amdhsa_system_sgpr_workgroup_id_x 1
		.amdhsa_system_sgpr_workgroup_id_y 0
		.amdhsa_system_sgpr_workgroup_id_z 1
		.amdhsa_system_sgpr_workgroup_info 0
		.amdhsa_system_vgpr_workitem_id 0
		.amdhsa_next_free_vgpr 10
		.amdhsa_next_free_sgpr 20
		.amdhsa_reserve_vcc 1
		.amdhsa_reserve_flat_scratch 0
		.amdhsa_float_round_mode_32 0
		.amdhsa_float_round_mode_16_64 0
		.amdhsa_float_denorm_mode_32 3
		.amdhsa_float_denorm_mode_16_64 3
		.amdhsa_dx10_clamp 1
		.amdhsa_ieee_mode 1
		.amdhsa_fp16_overflow 0
		.amdhsa_exception_fp_ieee_invalid_op 0
		.amdhsa_exception_fp_denorm_src 0
		.amdhsa_exception_fp_ieee_div_zero 0
		.amdhsa_exception_fp_ieee_overflow 0
		.amdhsa_exception_fp_ieee_underflow 0
		.amdhsa_exception_fp_ieee_inexact 0
		.amdhsa_exception_int_div_zero 0
	.end_amdhsa_kernel
	.section	.text._ZL18rocblas_rot_kernelIiLi512E19rocblas_complex_numIfEPKPS1_S4_PKfS6_EviT2_lllT3_lllT4_lT5_li,"axG",@progbits,_ZL18rocblas_rot_kernelIiLi512E19rocblas_complex_numIfEPKPS1_S4_PKfS6_EviT2_lllT3_lllT4_lT5_li,comdat
.Lfunc_end28:
	.size	_ZL18rocblas_rot_kernelIiLi512E19rocblas_complex_numIfEPKPS1_S4_PKfS6_EviT2_lllT3_lllT4_lT5_li, .Lfunc_end28-_ZL18rocblas_rot_kernelIiLi512E19rocblas_complex_numIfEPKPS1_S4_PKfS6_EviT2_lllT3_lllT4_lT5_li
                                        ; -- End function
	.set _ZL18rocblas_rot_kernelIiLi512E19rocblas_complex_numIfEPKPS1_S4_PKfS6_EviT2_lllT3_lllT4_lT5_li.num_vgpr, 10
	.set _ZL18rocblas_rot_kernelIiLi512E19rocblas_complex_numIfEPKPS1_S4_PKfS6_EviT2_lllT3_lllT4_lT5_li.num_agpr, 0
	.set _ZL18rocblas_rot_kernelIiLi512E19rocblas_complex_numIfEPKPS1_S4_PKfS6_EviT2_lllT3_lllT4_lT5_li.numbered_sgpr, 20
	.set _ZL18rocblas_rot_kernelIiLi512E19rocblas_complex_numIfEPKPS1_S4_PKfS6_EviT2_lllT3_lllT4_lT5_li.num_named_barrier, 0
	.set _ZL18rocblas_rot_kernelIiLi512E19rocblas_complex_numIfEPKPS1_S4_PKfS6_EviT2_lllT3_lllT4_lT5_li.private_seg_size, 0
	.set _ZL18rocblas_rot_kernelIiLi512E19rocblas_complex_numIfEPKPS1_S4_PKfS6_EviT2_lllT3_lllT4_lT5_li.uses_vcc, 1
	.set _ZL18rocblas_rot_kernelIiLi512E19rocblas_complex_numIfEPKPS1_S4_PKfS6_EviT2_lllT3_lllT4_lT5_li.uses_flat_scratch, 0
	.set _ZL18rocblas_rot_kernelIiLi512E19rocblas_complex_numIfEPKPS1_S4_PKfS6_EviT2_lllT3_lllT4_lT5_li.has_dyn_sized_stack, 0
	.set _ZL18rocblas_rot_kernelIiLi512E19rocblas_complex_numIfEPKPS1_S4_PKfS6_EviT2_lllT3_lllT4_lT5_li.has_recursion, 0
	.set _ZL18rocblas_rot_kernelIiLi512E19rocblas_complex_numIfEPKPS1_S4_PKfS6_EviT2_lllT3_lllT4_lT5_li.has_indirect_call, 0
	.section	.AMDGPU.csdata,"",@progbits
; Kernel info:
; codeLenInByte = 416
; TotalNumSgprs: 24
; NumVgprs: 10
; ScratchSize: 0
; MemoryBound: 0
; FloatMode: 240
; IeeeMode: 1
; LDSByteSize: 0 bytes/workgroup (compile time only)
; SGPRBlocks: 2
; VGPRBlocks: 2
; NumSGPRsForWavesPerEU: 24
; NumVGPRsForWavesPerEU: 10
; Occupancy: 10
; WaveLimiterHint : 1
; COMPUTE_PGM_RSRC2:SCRATCH_EN: 0
; COMPUTE_PGM_RSRC2:USER_SGPR: 6
; COMPUTE_PGM_RSRC2:TRAP_HANDLER: 0
; COMPUTE_PGM_RSRC2:TGID_X_EN: 1
; COMPUTE_PGM_RSRC2:TGID_Y_EN: 0
; COMPUTE_PGM_RSRC2:TGID_Z_EN: 1
; COMPUTE_PGM_RSRC2:TIDIG_COMP_CNT: 0
	.section	.text._ZL18rocblas_rot_kernelIiLi512E19rocblas_complex_numIfEPKPS1_S4_ffEviT2_lllT3_lllT4_lT5_li,"axG",@progbits,_ZL18rocblas_rot_kernelIiLi512E19rocblas_complex_numIfEPKPS1_S4_ffEviT2_lllT3_lllT4_lT5_li,comdat
	.globl	_ZL18rocblas_rot_kernelIiLi512E19rocblas_complex_numIfEPKPS1_S4_ffEviT2_lllT3_lllT4_lT5_li ; -- Begin function _ZL18rocblas_rot_kernelIiLi512E19rocblas_complex_numIfEPKPS1_S4_ffEviT2_lllT3_lllT4_lT5_li
	.p2align	8
	.type	_ZL18rocblas_rot_kernelIiLi512E19rocblas_complex_numIfEPKPS1_S4_ffEviT2_lllT3_lllT4_lT5_li,@function
_ZL18rocblas_rot_kernelIiLi512E19rocblas_complex_numIfEPKPS1_S4_ffEviT2_lllT3_lllT4_lT5_li: ; @_ZL18rocblas_rot_kernelIiLi512E19rocblas_complex_numIfEPKPS1_S4_ffEviT2_lllT3_lllT4_lT5_li
; %bb.0:
	s_load_dword s2, s[4:5], 0x0
	s_load_dword s1, s[4:5], 0x7c
	v_mov_b32_e32 v1, 0
	s_waitcnt lgkmcnt(0)
	s_ashr_i32 s3, s2, 31
	s_and_b32 s1, s1, 0xffff
	s_mul_i32 s6, s6, s1
	v_add_u32_e32 v0, s6, v0
	v_cmp_gt_i64_e32 vcc, s[2:3], v[0:1]
	s_and_saveexec_b64 s[2:3], vcc
	s_cbranch_execz .LBB29_2
; %bb.1:
	s_mov_b32 s0, s7
	s_load_dwordx4 s[8:11], s[4:5], 0x28
	s_load_dwordx2 s[6:7], s[4:5], 0x18
	s_load_dwordx2 s[12:13], s[4:5], 0x38
	s_mov_b32 s1, 0
	s_lshl_b64 s[14:15], s[0:1], 3
	s_waitcnt lgkmcnt(0)
	s_add_u32 s8, s8, s14
	s_addc_u32 s9, s9, s15
	s_load_dwordx2 s[16:17], s[8:9], 0x0
	s_load_dwordx4 s[0:3], s[4:5], 0x8
	v_mad_u64_u32 v[1:2], s[8:9], s6, v0, 0
	s_lshl_b64 s[8:9], s[10:11], 3
	s_waitcnt lgkmcnt(0)
	s_add_u32 s10, s16, s8
	s_addc_u32 s11, s17, s9
	v_mad_u64_u32 v[3:4], s[8:9], s12, v0, 0
	s_add_u32 s0, s0, s14
	s_addc_u32 s1, s1, s15
	v_mad_u64_u32 v[5:6], s[6:7], s7, v0, v[2:3]
	v_mov_b32_e32 v2, v4
	v_mad_u64_u32 v[6:7], s[6:7], s13, v0, v[2:3]
	s_load_dwordx2 s[0:1], s[0:1], 0x0
	v_mov_b32_e32 v2, v5
	v_mov_b32_e32 v4, v6
	v_lshlrev_b64 v[0:1], 3, v[1:2]
	v_lshlrev_b64 v[2:3], 3, v[3:4]
	s_lshl_b64 s[2:3], s[2:3], 3
	s_waitcnt lgkmcnt(0)
	s_add_u32 s0, s0, s2
	v_mov_b32_e32 v4, s11
	v_add_co_u32_e32 v2, vcc, s10, v2
	s_addc_u32 s1, s1, s3
	v_addc_co_u32_e32 v3, vcc, v4, v3, vcc
	v_mov_b32_e32 v6, s1
	v_add_co_u32_e32 v0, vcc, s0, v0
	flat_load_dwordx2 v[4:5], v[2:3]
	v_addc_co_u32_e32 v1, vcc, v6, v1, vcc
	flat_load_dwordx2 v[6:7], v[0:1]
	s_load_dword s0, s[4:5], 0x58
	s_load_dword s1, s[4:5], 0x48
	s_waitcnt vmcnt(0) lgkmcnt(0)
	v_mul_f32_e32 v8, s0, v4
	v_mul_f32_e32 v9, s0, v5
	v_fmac_f32_e32 v8, s1, v6
	v_fmac_f32_e32 v9, s1, v7
	v_mul_f32_e32 v6, s0, v6
	v_mul_f32_e32 v7, s0, v7
	v_fma_f32 v4, s1, v4, -v6
	v_fma_f32 v5, s1, v5, -v7
	flat_store_dwordx2 v[2:3], v[4:5]
	flat_store_dwordx2 v[0:1], v[8:9]
.LBB29_2:
	s_endpgm
	.section	.rodata,"a",@progbits
	.p2align	6, 0x0
	.amdhsa_kernel _ZL18rocblas_rot_kernelIiLi512E19rocblas_complex_numIfEPKPS1_S4_ffEviT2_lllT3_lllT4_lT5_li
		.amdhsa_group_segment_fixed_size 0
		.amdhsa_private_segment_fixed_size 0
		.amdhsa_kernarg_size 368
		.amdhsa_user_sgpr_count 6
		.amdhsa_user_sgpr_private_segment_buffer 1
		.amdhsa_user_sgpr_dispatch_ptr 0
		.amdhsa_user_sgpr_queue_ptr 0
		.amdhsa_user_sgpr_kernarg_segment_ptr 1
		.amdhsa_user_sgpr_dispatch_id 0
		.amdhsa_user_sgpr_flat_scratch_init 0
		.amdhsa_user_sgpr_private_segment_size 0
		.amdhsa_uses_dynamic_stack 0
		.amdhsa_system_sgpr_private_segment_wavefront_offset 0
		.amdhsa_system_sgpr_workgroup_id_x 1
		.amdhsa_system_sgpr_workgroup_id_y 0
		.amdhsa_system_sgpr_workgroup_id_z 1
		.amdhsa_system_sgpr_workgroup_info 0
		.amdhsa_system_vgpr_workitem_id 0
		.amdhsa_next_free_vgpr 10
		.amdhsa_next_free_sgpr 18
		.amdhsa_reserve_vcc 1
		.amdhsa_reserve_flat_scratch 0
		.amdhsa_float_round_mode_32 0
		.amdhsa_float_round_mode_16_64 0
		.amdhsa_float_denorm_mode_32 3
		.amdhsa_float_denorm_mode_16_64 3
		.amdhsa_dx10_clamp 1
		.amdhsa_ieee_mode 1
		.amdhsa_fp16_overflow 0
		.amdhsa_exception_fp_ieee_invalid_op 0
		.amdhsa_exception_fp_denorm_src 0
		.amdhsa_exception_fp_ieee_div_zero 0
		.amdhsa_exception_fp_ieee_overflow 0
		.amdhsa_exception_fp_ieee_underflow 0
		.amdhsa_exception_fp_ieee_inexact 0
		.amdhsa_exception_int_div_zero 0
	.end_amdhsa_kernel
	.section	.text._ZL18rocblas_rot_kernelIiLi512E19rocblas_complex_numIfEPKPS1_S4_ffEviT2_lllT3_lllT4_lT5_li,"axG",@progbits,_ZL18rocblas_rot_kernelIiLi512E19rocblas_complex_numIfEPKPS1_S4_ffEviT2_lllT3_lllT4_lT5_li,comdat
.Lfunc_end29:
	.size	_ZL18rocblas_rot_kernelIiLi512E19rocblas_complex_numIfEPKPS1_S4_ffEviT2_lllT3_lllT4_lT5_li, .Lfunc_end29-_ZL18rocblas_rot_kernelIiLi512E19rocblas_complex_numIfEPKPS1_S4_ffEviT2_lllT3_lllT4_lT5_li
                                        ; -- End function
	.set _ZL18rocblas_rot_kernelIiLi512E19rocblas_complex_numIfEPKPS1_S4_ffEviT2_lllT3_lllT4_lT5_li.num_vgpr, 10
	.set _ZL18rocblas_rot_kernelIiLi512E19rocblas_complex_numIfEPKPS1_S4_ffEviT2_lllT3_lllT4_lT5_li.num_agpr, 0
	.set _ZL18rocblas_rot_kernelIiLi512E19rocblas_complex_numIfEPKPS1_S4_ffEviT2_lllT3_lllT4_lT5_li.numbered_sgpr, 18
	.set _ZL18rocblas_rot_kernelIiLi512E19rocblas_complex_numIfEPKPS1_S4_ffEviT2_lllT3_lllT4_lT5_li.num_named_barrier, 0
	.set _ZL18rocblas_rot_kernelIiLi512E19rocblas_complex_numIfEPKPS1_S4_ffEviT2_lllT3_lllT4_lT5_li.private_seg_size, 0
	.set _ZL18rocblas_rot_kernelIiLi512E19rocblas_complex_numIfEPKPS1_S4_ffEviT2_lllT3_lllT4_lT5_li.uses_vcc, 1
	.set _ZL18rocblas_rot_kernelIiLi512E19rocblas_complex_numIfEPKPS1_S4_ffEviT2_lllT3_lllT4_lT5_li.uses_flat_scratch, 0
	.set _ZL18rocblas_rot_kernelIiLi512E19rocblas_complex_numIfEPKPS1_S4_ffEviT2_lllT3_lllT4_lT5_li.has_dyn_sized_stack, 0
	.set _ZL18rocblas_rot_kernelIiLi512E19rocblas_complex_numIfEPKPS1_S4_ffEviT2_lllT3_lllT4_lT5_li.has_recursion, 0
	.set _ZL18rocblas_rot_kernelIiLi512E19rocblas_complex_numIfEPKPS1_S4_ffEviT2_lllT3_lllT4_lT5_li.has_indirect_call, 0
	.section	.AMDGPU.csdata,"",@progbits
; Kernel info:
; codeLenInByte = 348
; TotalNumSgprs: 22
; NumVgprs: 10
; ScratchSize: 0
; MemoryBound: 0
; FloatMode: 240
; IeeeMode: 1
; LDSByteSize: 0 bytes/workgroup (compile time only)
; SGPRBlocks: 2
; VGPRBlocks: 2
; NumSGPRsForWavesPerEU: 22
; NumVGPRsForWavesPerEU: 10
; Occupancy: 10
; WaveLimiterHint : 1
; COMPUTE_PGM_RSRC2:SCRATCH_EN: 0
; COMPUTE_PGM_RSRC2:USER_SGPR: 6
; COMPUTE_PGM_RSRC2:TRAP_HANDLER: 0
; COMPUTE_PGM_RSRC2:TGID_X_EN: 1
; COMPUTE_PGM_RSRC2:TGID_Y_EN: 0
; COMPUTE_PGM_RSRC2:TGID_Z_EN: 1
; COMPUTE_PGM_RSRC2:TIDIG_COMP_CNT: 0
	.section	.text._ZL18rocblas_rot_kernelIiLi512E19rocblas_complex_numIfEPKPS1_S4_PKfPKS1_EviT2_lllT3_lllT4_lT5_li,"axG",@progbits,_ZL18rocblas_rot_kernelIiLi512E19rocblas_complex_numIfEPKPS1_S4_PKfPKS1_EviT2_lllT3_lllT4_lT5_li,comdat
	.globl	_ZL18rocblas_rot_kernelIiLi512E19rocblas_complex_numIfEPKPS1_S4_PKfPKS1_EviT2_lllT3_lllT4_lT5_li ; -- Begin function _ZL18rocblas_rot_kernelIiLi512E19rocblas_complex_numIfEPKPS1_S4_PKfPKS1_EviT2_lllT3_lllT4_lT5_li
	.p2align	8
	.type	_ZL18rocblas_rot_kernelIiLi512E19rocblas_complex_numIfEPKPS1_S4_PKfPKS1_EviT2_lllT3_lllT4_lT5_li,@function
_ZL18rocblas_rot_kernelIiLi512E19rocblas_complex_numIfEPKPS1_S4_PKfPKS1_EviT2_lllT3_lllT4_lT5_li: ; @_ZL18rocblas_rot_kernelIiLi512E19rocblas_complex_numIfEPKPS1_S4_PKfPKS1_EviT2_lllT3_lllT4_lT5_li
; %bb.0:
	s_load_dword s0, s[4:5], 0x0
	s_load_dword s2, s[4:5], 0x7c
	v_mov_b32_e32 v1, 0
	s_waitcnt lgkmcnt(0)
	s_ashr_i32 s1, s0, 31
	s_and_b32 s2, s2, 0xffff
	s_mul_i32 s6, s6, s2
	v_add_u32_e32 v0, s6, v0
	v_cmp_gt_i64_e32 vcc, s[0:1], v[0:1]
	s_and_saveexec_b64 s[0:1], vcc
	s_cbranch_execz .LBB30_2
; %bb.1:
	s_mov_b32 s8, s7
	s_load_dwordx4 s[0:3], s[4:5], 0x28
	s_load_dwordx2 s[6:7], s[4:5], 0x18
	s_load_dwordx2 s[10:11], s[4:5], 0x38
	s_mov_b32 s9, 0
	s_lshl_b64 s[16:17], s[8:9], 3
	s_waitcnt lgkmcnt(0)
	s_add_u32 s0, s0, s16
	s_addc_u32 s1, s1, s17
	s_load_dwordx2 s[18:19], s[0:1], 0x0
	s_load_dwordx4 s[12:15], s[4:5], 0x8
	v_mad_u64_u32 v[1:2], s[0:1], s6, v0, 0
	s_lshl_b64 s[0:1], s[2:3], 3
	s_waitcnt lgkmcnt(0)
	s_add_u32 s9, s18, s0
	s_addc_u32 s18, s19, s1
	s_add_u32 s0, s12, s16
	s_addc_u32 s1, s13, s17
	v_mad_u64_u32 v[3:4], s[12:13], s10, v0, 0
	s_load_dwordx2 s[0:1], s[0:1], 0x0
	s_lshl_b64 s[2:3], s[14:15], 3
	v_mad_u64_u32 v[5:6], s[6:7], s7, v0, v[2:3]
	v_mov_b32_e32 v2, v4
	v_mad_u64_u32 v[6:7], s[6:7], s11, v0, v[2:3]
	v_mov_b32_e32 v2, v5
	v_lshlrev_b64 v[0:1], 3, v[1:2]
	v_mov_b32_e32 v4, v6
	v_lshlrev_b64 v[2:3], 3, v[3:4]
	s_waitcnt lgkmcnt(0)
	s_add_u32 s0, s0, s2
	v_mov_b32_e32 v4, s18
	v_add_co_u32_e32 v2, vcc, s9, v2
	s_addc_u32 s1, s1, s3
	v_addc_co_u32_e32 v3, vcc, v4, v3, vcc
	v_mov_b32_e32 v6, s1
	v_add_co_u32_e32 v0, vcc, s0, v0
	flat_load_dwordx2 v[4:5], v[2:3]
	v_addc_co_u32_e32 v1, vcc, v6, v1, vcc
	flat_load_dwordx2 v[6:7], v[0:1]
	s_load_dwordx8 s[12:19], s[4:5], 0x48
	s_waitcnt lgkmcnt(0)
	s_mul_i32 s1, s19, s8
	s_mul_hi_u32 s3, s18, s8
	s_mul_i32 s0, s18, s8
	s_add_i32 s1, s3, s1
	s_lshl_b64 s[0:1], s[0:1], 3
	s_mul_i32 s4, s15, s8
	s_mul_hi_u32 s5, s14, s8
	s_add_u32 s0, s16, s0
	s_mul_i32 s2, s14, s8
	s_addc_u32 s1, s17, s1
	s_add_i32 s3, s5, s4
	s_load_dwordx2 s[4:5], s[0:1], 0x0
	s_lshl_b64 s[0:1], s[2:3], 2
	s_add_u32 s0, s12, s0
	s_addc_u32 s1, s13, s1
	s_load_dword s0, s[0:1], 0x0
	s_waitcnt vmcnt(0) lgkmcnt(0)
	v_mul_f32_e32 v8, s5, v5
	v_fma_f32 v8, s4, v4, -v8
	v_mul_f32_e32 v9, s4, v5
	v_mul_f32_e32 v10, s5, v7
	;; [unrolled: 1-line block ×3, first 2 shown]
	v_fmac_f32_e32 v8, s0, v6
	v_fmac_f32_e32 v10, s4, v6
	v_fma_f32 v6, s4, v7, -v11
	v_fmac_f32_e32 v9, s5, v4
	v_fma_f32 v4, s0, v4, -v10
	v_fma_f32 v5, s0, v5, -v6
	v_fmac_f32_e32 v9, s0, v7
	flat_store_dwordx2 v[2:3], v[4:5]
	flat_store_dwordx2 v[0:1], v[8:9]
.LBB30_2:
	s_endpgm
	.section	.rodata,"a",@progbits
	.p2align	6, 0x0
	.amdhsa_kernel _ZL18rocblas_rot_kernelIiLi512E19rocblas_complex_numIfEPKPS1_S4_PKfPKS1_EviT2_lllT3_lllT4_lT5_li
		.amdhsa_group_segment_fixed_size 0
		.amdhsa_private_segment_fixed_size 0
		.amdhsa_kernarg_size 368
		.amdhsa_user_sgpr_count 6
		.amdhsa_user_sgpr_private_segment_buffer 1
		.amdhsa_user_sgpr_dispatch_ptr 0
		.amdhsa_user_sgpr_queue_ptr 0
		.amdhsa_user_sgpr_kernarg_segment_ptr 1
		.amdhsa_user_sgpr_dispatch_id 0
		.amdhsa_user_sgpr_flat_scratch_init 0
		.amdhsa_user_sgpr_private_segment_size 0
		.amdhsa_uses_dynamic_stack 0
		.amdhsa_system_sgpr_private_segment_wavefront_offset 0
		.amdhsa_system_sgpr_workgroup_id_x 1
		.amdhsa_system_sgpr_workgroup_id_y 0
		.amdhsa_system_sgpr_workgroup_id_z 1
		.amdhsa_system_sgpr_workgroup_info 0
		.amdhsa_system_vgpr_workitem_id 0
		.amdhsa_next_free_vgpr 12
		.amdhsa_next_free_sgpr 20
		.amdhsa_reserve_vcc 1
		.amdhsa_reserve_flat_scratch 0
		.amdhsa_float_round_mode_32 0
		.amdhsa_float_round_mode_16_64 0
		.amdhsa_float_denorm_mode_32 3
		.amdhsa_float_denorm_mode_16_64 3
		.amdhsa_dx10_clamp 1
		.amdhsa_ieee_mode 1
		.amdhsa_fp16_overflow 0
		.amdhsa_exception_fp_ieee_invalid_op 0
		.amdhsa_exception_fp_denorm_src 0
		.amdhsa_exception_fp_ieee_div_zero 0
		.amdhsa_exception_fp_ieee_overflow 0
		.amdhsa_exception_fp_ieee_underflow 0
		.amdhsa_exception_fp_ieee_inexact 0
		.amdhsa_exception_int_div_zero 0
	.end_amdhsa_kernel
	.section	.text._ZL18rocblas_rot_kernelIiLi512E19rocblas_complex_numIfEPKPS1_S4_PKfPKS1_EviT2_lllT3_lllT4_lT5_li,"axG",@progbits,_ZL18rocblas_rot_kernelIiLi512E19rocblas_complex_numIfEPKPS1_S4_PKfPKS1_EviT2_lllT3_lllT4_lT5_li,comdat
.Lfunc_end30:
	.size	_ZL18rocblas_rot_kernelIiLi512E19rocblas_complex_numIfEPKPS1_S4_PKfPKS1_EviT2_lllT3_lllT4_lT5_li, .Lfunc_end30-_ZL18rocblas_rot_kernelIiLi512E19rocblas_complex_numIfEPKPS1_S4_PKfPKS1_EviT2_lllT3_lllT4_lT5_li
                                        ; -- End function
	.set _ZL18rocblas_rot_kernelIiLi512E19rocblas_complex_numIfEPKPS1_S4_PKfPKS1_EviT2_lllT3_lllT4_lT5_li.num_vgpr, 12
	.set _ZL18rocblas_rot_kernelIiLi512E19rocblas_complex_numIfEPKPS1_S4_PKfPKS1_EviT2_lllT3_lllT4_lT5_li.num_agpr, 0
	.set _ZL18rocblas_rot_kernelIiLi512E19rocblas_complex_numIfEPKPS1_S4_PKfPKS1_EviT2_lllT3_lllT4_lT5_li.numbered_sgpr, 20
	.set _ZL18rocblas_rot_kernelIiLi512E19rocblas_complex_numIfEPKPS1_S4_PKfPKS1_EviT2_lllT3_lllT4_lT5_li.num_named_barrier, 0
	.set _ZL18rocblas_rot_kernelIiLi512E19rocblas_complex_numIfEPKPS1_S4_PKfPKS1_EviT2_lllT3_lllT4_lT5_li.private_seg_size, 0
	.set _ZL18rocblas_rot_kernelIiLi512E19rocblas_complex_numIfEPKPS1_S4_PKfPKS1_EviT2_lllT3_lllT4_lT5_li.uses_vcc, 1
	.set _ZL18rocblas_rot_kernelIiLi512E19rocblas_complex_numIfEPKPS1_S4_PKfPKS1_EviT2_lllT3_lllT4_lT5_li.uses_flat_scratch, 0
	.set _ZL18rocblas_rot_kernelIiLi512E19rocblas_complex_numIfEPKPS1_S4_PKfPKS1_EviT2_lllT3_lllT4_lT5_li.has_dyn_sized_stack, 0
	.set _ZL18rocblas_rot_kernelIiLi512E19rocblas_complex_numIfEPKPS1_S4_PKfPKS1_EviT2_lllT3_lllT4_lT5_li.has_recursion, 0
	.set _ZL18rocblas_rot_kernelIiLi512E19rocblas_complex_numIfEPKPS1_S4_PKfPKS1_EviT2_lllT3_lllT4_lT5_li.has_indirect_call, 0
	.section	.AMDGPU.csdata,"",@progbits
; Kernel info:
; codeLenInByte = 440
; TotalNumSgprs: 24
; NumVgprs: 12
; ScratchSize: 0
; MemoryBound: 0
; FloatMode: 240
; IeeeMode: 1
; LDSByteSize: 0 bytes/workgroup (compile time only)
; SGPRBlocks: 2
; VGPRBlocks: 2
; NumSGPRsForWavesPerEU: 24
; NumVGPRsForWavesPerEU: 12
; Occupancy: 10
; WaveLimiterHint : 1
; COMPUTE_PGM_RSRC2:SCRATCH_EN: 0
; COMPUTE_PGM_RSRC2:USER_SGPR: 6
; COMPUTE_PGM_RSRC2:TRAP_HANDLER: 0
; COMPUTE_PGM_RSRC2:TGID_X_EN: 1
; COMPUTE_PGM_RSRC2:TGID_Y_EN: 0
; COMPUTE_PGM_RSRC2:TGID_Z_EN: 1
; COMPUTE_PGM_RSRC2:TIDIG_COMP_CNT: 0
	.section	.text._ZL18rocblas_rot_kernelIiLi512E19rocblas_complex_numIfEPKPS1_S4_fS1_EviT2_lllT3_lllT4_lT5_li,"axG",@progbits,_ZL18rocblas_rot_kernelIiLi512E19rocblas_complex_numIfEPKPS1_S4_fS1_EviT2_lllT3_lllT4_lT5_li,comdat
	.globl	_ZL18rocblas_rot_kernelIiLi512E19rocblas_complex_numIfEPKPS1_S4_fS1_EviT2_lllT3_lllT4_lT5_li ; -- Begin function _ZL18rocblas_rot_kernelIiLi512E19rocblas_complex_numIfEPKPS1_S4_fS1_EviT2_lllT3_lllT4_lT5_li
	.p2align	8
	.type	_ZL18rocblas_rot_kernelIiLi512E19rocblas_complex_numIfEPKPS1_S4_fS1_EviT2_lllT3_lllT4_lT5_li,@function
_ZL18rocblas_rot_kernelIiLi512E19rocblas_complex_numIfEPKPS1_S4_fS1_EviT2_lllT3_lllT4_lT5_li: ; @_ZL18rocblas_rot_kernelIiLi512E19rocblas_complex_numIfEPKPS1_S4_fS1_EviT2_lllT3_lllT4_lT5_li
; %bb.0:
	s_load_dword s2, s[4:5], 0x0
	s_load_dword s1, s[4:5], 0x7c
	v_mov_b32_e32 v1, 0
	s_waitcnt lgkmcnt(0)
	s_ashr_i32 s3, s2, 31
	s_and_b32 s1, s1, 0xffff
	s_mul_i32 s6, s6, s1
	v_add_u32_e32 v0, s6, v0
	v_cmp_gt_i64_e32 vcc, s[2:3], v[0:1]
	s_and_saveexec_b64 s[2:3], vcc
	s_cbranch_execz .LBB31_2
; %bb.1:
	s_mov_b32 s0, s7
	s_load_dwordx4 s[8:11], s[4:5], 0x28
	s_load_dwordx2 s[6:7], s[4:5], 0x18
	s_load_dwordx2 s[12:13], s[4:5], 0x38
	s_mov_b32 s1, 0
	s_lshl_b64 s[14:15], s[0:1], 3
	s_waitcnt lgkmcnt(0)
	s_add_u32 s8, s8, s14
	s_addc_u32 s9, s9, s15
	s_load_dwordx2 s[16:17], s[8:9], 0x0
	s_load_dwordx4 s[0:3], s[4:5], 0x8
	v_mad_u64_u32 v[1:2], s[8:9], s6, v0, 0
	s_lshl_b64 s[8:9], s[10:11], 3
	s_waitcnt lgkmcnt(0)
	s_add_u32 s10, s16, s8
	s_addc_u32 s11, s17, s9
	v_mad_u64_u32 v[3:4], s[8:9], s12, v0, 0
	s_add_u32 s0, s0, s14
	s_addc_u32 s1, s1, s15
	v_mad_u64_u32 v[5:6], s[6:7], s7, v0, v[2:3]
	v_mov_b32_e32 v2, v4
	v_mad_u64_u32 v[6:7], s[6:7], s13, v0, v[2:3]
	s_load_dwordx2 s[0:1], s[0:1], 0x0
	v_mov_b32_e32 v2, v5
	v_mov_b32_e32 v4, v6
	v_lshlrev_b64 v[0:1], 3, v[1:2]
	v_lshlrev_b64 v[2:3], 3, v[3:4]
	s_lshl_b64 s[2:3], s[2:3], 3
	s_waitcnt lgkmcnt(0)
	s_add_u32 s0, s0, s2
	v_mov_b32_e32 v4, s11
	v_add_co_u32_e32 v2, vcc, s10, v2
	s_addc_u32 s1, s1, s3
	v_addc_co_u32_e32 v3, vcc, v4, v3, vcc
	v_mov_b32_e32 v6, s1
	v_add_co_u32_e32 v0, vcc, s0, v0
	flat_load_dwordx2 v[4:5], v[2:3]
	v_addc_co_u32_e32 v1, vcc, v6, v1, vcc
	flat_load_dwordx2 v[6:7], v[0:1]
	s_load_dwordx2 s[0:1], s[4:5], 0x58
	s_load_dword s2, s[4:5], 0x48
	s_waitcnt vmcnt(0) lgkmcnt(0)
	v_mul_f32_e32 v8, s1, v5
	v_fma_f32 v8, s0, v4, -v8
	v_mul_f32_e32 v9, s0, v5
	v_mul_f32_e32 v10, s1, v7
	;; [unrolled: 1-line block ×3, first 2 shown]
	v_fmac_f32_e32 v8, s2, v6
	v_fmac_f32_e32 v10, s0, v6
	v_fma_f32 v6, s0, v7, -v11
	v_fmac_f32_e32 v9, s1, v4
	v_fma_f32 v4, s2, v4, -v10
	v_fma_f32 v5, s2, v5, -v6
	v_fmac_f32_e32 v9, s2, v7
	flat_store_dwordx2 v[2:3], v[4:5]
	flat_store_dwordx2 v[0:1], v[8:9]
.LBB31_2:
	s_endpgm
	.section	.rodata,"a",@progbits
	.p2align	6, 0x0
	.amdhsa_kernel _ZL18rocblas_rot_kernelIiLi512E19rocblas_complex_numIfEPKPS1_S4_fS1_EviT2_lllT3_lllT4_lT5_li
		.amdhsa_group_segment_fixed_size 0
		.amdhsa_private_segment_fixed_size 0
		.amdhsa_kernarg_size 368
		.amdhsa_user_sgpr_count 6
		.amdhsa_user_sgpr_private_segment_buffer 1
		.amdhsa_user_sgpr_dispatch_ptr 0
		.amdhsa_user_sgpr_queue_ptr 0
		.amdhsa_user_sgpr_kernarg_segment_ptr 1
		.amdhsa_user_sgpr_dispatch_id 0
		.amdhsa_user_sgpr_flat_scratch_init 0
		.amdhsa_user_sgpr_private_segment_size 0
		.amdhsa_uses_dynamic_stack 0
		.amdhsa_system_sgpr_private_segment_wavefront_offset 0
		.amdhsa_system_sgpr_workgroup_id_x 1
		.amdhsa_system_sgpr_workgroup_id_y 0
		.amdhsa_system_sgpr_workgroup_id_z 1
		.amdhsa_system_sgpr_workgroup_info 0
		.amdhsa_system_vgpr_workitem_id 0
		.amdhsa_next_free_vgpr 12
		.amdhsa_next_free_sgpr 18
		.amdhsa_reserve_vcc 1
		.amdhsa_reserve_flat_scratch 0
		.amdhsa_float_round_mode_32 0
		.amdhsa_float_round_mode_16_64 0
		.amdhsa_float_denorm_mode_32 3
		.amdhsa_float_denorm_mode_16_64 3
		.amdhsa_dx10_clamp 1
		.amdhsa_ieee_mode 1
		.amdhsa_fp16_overflow 0
		.amdhsa_exception_fp_ieee_invalid_op 0
		.amdhsa_exception_fp_denorm_src 0
		.amdhsa_exception_fp_ieee_div_zero 0
		.amdhsa_exception_fp_ieee_overflow 0
		.amdhsa_exception_fp_ieee_underflow 0
		.amdhsa_exception_fp_ieee_inexact 0
		.amdhsa_exception_int_div_zero 0
	.end_amdhsa_kernel
	.section	.text._ZL18rocblas_rot_kernelIiLi512E19rocblas_complex_numIfEPKPS1_S4_fS1_EviT2_lllT3_lllT4_lT5_li,"axG",@progbits,_ZL18rocblas_rot_kernelIiLi512E19rocblas_complex_numIfEPKPS1_S4_fS1_EviT2_lllT3_lllT4_lT5_li,comdat
.Lfunc_end31:
	.size	_ZL18rocblas_rot_kernelIiLi512E19rocblas_complex_numIfEPKPS1_S4_fS1_EviT2_lllT3_lllT4_lT5_li, .Lfunc_end31-_ZL18rocblas_rot_kernelIiLi512E19rocblas_complex_numIfEPKPS1_S4_fS1_EviT2_lllT3_lllT4_lT5_li
                                        ; -- End function
	.set _ZL18rocblas_rot_kernelIiLi512E19rocblas_complex_numIfEPKPS1_S4_fS1_EviT2_lllT3_lllT4_lT5_li.num_vgpr, 12
	.set _ZL18rocblas_rot_kernelIiLi512E19rocblas_complex_numIfEPKPS1_S4_fS1_EviT2_lllT3_lllT4_lT5_li.num_agpr, 0
	.set _ZL18rocblas_rot_kernelIiLi512E19rocblas_complex_numIfEPKPS1_S4_fS1_EviT2_lllT3_lllT4_lT5_li.numbered_sgpr, 18
	.set _ZL18rocblas_rot_kernelIiLi512E19rocblas_complex_numIfEPKPS1_S4_fS1_EviT2_lllT3_lllT4_lT5_li.num_named_barrier, 0
	.set _ZL18rocblas_rot_kernelIiLi512E19rocblas_complex_numIfEPKPS1_S4_fS1_EviT2_lllT3_lllT4_lT5_li.private_seg_size, 0
	.set _ZL18rocblas_rot_kernelIiLi512E19rocblas_complex_numIfEPKPS1_S4_fS1_EviT2_lllT3_lllT4_lT5_li.uses_vcc, 1
	.set _ZL18rocblas_rot_kernelIiLi512E19rocblas_complex_numIfEPKPS1_S4_fS1_EviT2_lllT3_lllT4_lT5_li.uses_flat_scratch, 0
	.set _ZL18rocblas_rot_kernelIiLi512E19rocblas_complex_numIfEPKPS1_S4_fS1_EviT2_lllT3_lllT4_lT5_li.has_dyn_sized_stack, 0
	.set _ZL18rocblas_rot_kernelIiLi512E19rocblas_complex_numIfEPKPS1_S4_fS1_EviT2_lllT3_lllT4_lT5_li.has_recursion, 0
	.set _ZL18rocblas_rot_kernelIiLi512E19rocblas_complex_numIfEPKPS1_S4_fS1_EviT2_lllT3_lllT4_lT5_li.has_indirect_call, 0
	.section	.AMDGPU.csdata,"",@progbits
; Kernel info:
; codeLenInByte = 372
; TotalNumSgprs: 22
; NumVgprs: 12
; ScratchSize: 0
; MemoryBound: 0
; FloatMode: 240
; IeeeMode: 1
; LDSByteSize: 0 bytes/workgroup (compile time only)
; SGPRBlocks: 2
; VGPRBlocks: 2
; NumSGPRsForWavesPerEU: 22
; NumVGPRsForWavesPerEU: 12
; Occupancy: 10
; WaveLimiterHint : 1
; COMPUTE_PGM_RSRC2:SCRATCH_EN: 0
; COMPUTE_PGM_RSRC2:USER_SGPR: 6
; COMPUTE_PGM_RSRC2:TRAP_HANDLER: 0
; COMPUTE_PGM_RSRC2:TGID_X_EN: 1
; COMPUTE_PGM_RSRC2:TGID_Y_EN: 0
; COMPUTE_PGM_RSRC2:TGID_Z_EN: 1
; COMPUTE_PGM_RSRC2:TIDIG_COMP_CNT: 0
	.section	.text._ZL18rocblas_rot_kernelIiLi512E19rocblas_complex_numIfEPKPS1_S4_PKS1_S6_EviT2_lllT3_lllT4_lT5_li,"axG",@progbits,_ZL18rocblas_rot_kernelIiLi512E19rocblas_complex_numIfEPKPS1_S4_PKS1_S6_EviT2_lllT3_lllT4_lT5_li,comdat
	.globl	_ZL18rocblas_rot_kernelIiLi512E19rocblas_complex_numIfEPKPS1_S4_PKS1_S6_EviT2_lllT3_lllT4_lT5_li ; -- Begin function _ZL18rocblas_rot_kernelIiLi512E19rocblas_complex_numIfEPKPS1_S4_PKS1_S6_EviT2_lllT3_lllT4_lT5_li
	.p2align	8
	.type	_ZL18rocblas_rot_kernelIiLi512E19rocblas_complex_numIfEPKPS1_S4_PKS1_S6_EviT2_lllT3_lllT4_lT5_li,@function
_ZL18rocblas_rot_kernelIiLi512E19rocblas_complex_numIfEPKPS1_S4_PKS1_S6_EviT2_lllT3_lllT4_lT5_li: ; @_ZL18rocblas_rot_kernelIiLi512E19rocblas_complex_numIfEPKPS1_S4_PKS1_S6_EviT2_lllT3_lllT4_lT5_li
; %bb.0:
	s_load_dword s0, s[4:5], 0x0
	s_load_dword s2, s[4:5], 0x7c
	v_mov_b32_e32 v1, 0
	s_waitcnt lgkmcnt(0)
	s_ashr_i32 s1, s0, 31
	s_and_b32 s2, s2, 0xffff
	s_mul_i32 s6, s6, s2
	v_add_u32_e32 v0, s6, v0
	v_cmp_gt_i64_e32 vcc, s[0:1], v[0:1]
	s_and_saveexec_b64 s[0:1], vcc
	s_cbranch_execz .LBB32_2
; %bb.1:
	s_mov_b32 s8, s7
	s_load_dwordx4 s[0:3], s[4:5], 0x28
	s_load_dwordx2 s[6:7], s[4:5], 0x18
	s_load_dwordx2 s[10:11], s[4:5], 0x38
	s_mov_b32 s9, 0
	s_lshl_b64 s[16:17], s[8:9], 3
	s_waitcnt lgkmcnt(0)
	s_add_u32 s0, s0, s16
	s_addc_u32 s1, s1, s17
	s_load_dwordx2 s[18:19], s[0:1], 0x0
	s_load_dwordx4 s[12:15], s[4:5], 0x8
	v_mad_u64_u32 v[1:2], s[0:1], s6, v0, 0
	s_lshl_b64 s[0:1], s[2:3], 3
	s_waitcnt lgkmcnt(0)
	s_add_u32 s9, s18, s0
	s_addc_u32 s18, s19, s1
	s_add_u32 s0, s12, s16
	s_addc_u32 s1, s13, s17
	v_mad_u64_u32 v[3:4], s[12:13], s10, v0, 0
	s_load_dwordx2 s[0:1], s[0:1], 0x0
	s_lshl_b64 s[2:3], s[14:15], 3
	v_mad_u64_u32 v[5:6], s[6:7], s7, v0, v[2:3]
	v_mov_b32_e32 v2, v4
	v_mad_u64_u32 v[6:7], s[6:7], s11, v0, v[2:3]
	v_mov_b32_e32 v2, v5
	v_lshlrev_b64 v[0:1], 3, v[1:2]
	v_mov_b32_e32 v4, v6
	v_lshlrev_b64 v[2:3], 3, v[3:4]
	s_waitcnt lgkmcnt(0)
	s_add_u32 s0, s0, s2
	v_mov_b32_e32 v4, s18
	v_add_co_u32_e32 v2, vcc, s9, v2
	s_addc_u32 s1, s1, s3
	v_addc_co_u32_e32 v3, vcc, v4, v3, vcc
	v_mov_b32_e32 v6, s1
	v_add_co_u32_e32 v0, vcc, s0, v0
	flat_load_dwordx2 v[4:5], v[2:3]
	v_addc_co_u32_e32 v1, vcc, v6, v1, vcc
	flat_load_dwordx2 v[6:7], v[0:1]
	s_load_dwordx8 s[12:19], s[4:5], 0x48
	s_waitcnt lgkmcnt(0)
	s_mul_i32 s1, s19, s8
	s_mul_hi_u32 s3, s18, s8
	s_mul_i32 s0, s18, s8
	s_add_i32 s1, s3, s1
	s_lshl_b64 s[0:1], s[0:1], 3
	s_mul_i32 s4, s15, s8
	s_mul_hi_u32 s5, s14, s8
	s_add_u32 s0, s16, s0
	s_mul_i32 s2, s14, s8
	s_addc_u32 s1, s17, s1
	s_add_i32 s3, s5, s4
	s_load_dwordx2 s[4:5], s[0:1], 0x0
	s_lshl_b64 s[0:1], s[2:3], 3
	s_add_u32 s0, s12, s0
	s_addc_u32 s1, s13, s1
	s_load_dword s0, s[0:1], 0x0
	s_waitcnt vmcnt(0) lgkmcnt(0)
	v_mul_f32_e32 v8, s5, v5
	v_fma_f32 v8, s4, v4, -v8
	v_mul_f32_e32 v9, s4, v5
	v_mul_f32_e32 v10, s5, v7
	;; [unrolled: 1-line block ×3, first 2 shown]
	v_fmac_f32_e32 v8, s0, v6
	v_fmac_f32_e32 v10, s4, v6
	v_fma_f32 v6, s4, v7, -v11
	v_fmac_f32_e32 v9, s5, v4
	v_fma_f32 v4, s0, v4, -v10
	v_fma_f32 v5, s0, v5, -v6
	v_fmac_f32_e32 v9, s0, v7
	flat_store_dwordx2 v[2:3], v[4:5]
	flat_store_dwordx2 v[0:1], v[8:9]
.LBB32_2:
	s_endpgm
	.section	.rodata,"a",@progbits
	.p2align	6, 0x0
	.amdhsa_kernel _ZL18rocblas_rot_kernelIiLi512E19rocblas_complex_numIfEPKPS1_S4_PKS1_S6_EviT2_lllT3_lllT4_lT5_li
		.amdhsa_group_segment_fixed_size 0
		.amdhsa_private_segment_fixed_size 0
		.amdhsa_kernarg_size 368
		.amdhsa_user_sgpr_count 6
		.amdhsa_user_sgpr_private_segment_buffer 1
		.amdhsa_user_sgpr_dispatch_ptr 0
		.amdhsa_user_sgpr_queue_ptr 0
		.amdhsa_user_sgpr_kernarg_segment_ptr 1
		.amdhsa_user_sgpr_dispatch_id 0
		.amdhsa_user_sgpr_flat_scratch_init 0
		.amdhsa_user_sgpr_private_segment_size 0
		.amdhsa_uses_dynamic_stack 0
		.amdhsa_system_sgpr_private_segment_wavefront_offset 0
		.amdhsa_system_sgpr_workgroup_id_x 1
		.amdhsa_system_sgpr_workgroup_id_y 0
		.amdhsa_system_sgpr_workgroup_id_z 1
		.amdhsa_system_sgpr_workgroup_info 0
		.amdhsa_system_vgpr_workitem_id 0
		.amdhsa_next_free_vgpr 12
		.amdhsa_next_free_sgpr 20
		.amdhsa_reserve_vcc 1
		.amdhsa_reserve_flat_scratch 0
		.amdhsa_float_round_mode_32 0
		.amdhsa_float_round_mode_16_64 0
		.amdhsa_float_denorm_mode_32 3
		.amdhsa_float_denorm_mode_16_64 3
		.amdhsa_dx10_clamp 1
		.amdhsa_ieee_mode 1
		.amdhsa_fp16_overflow 0
		.amdhsa_exception_fp_ieee_invalid_op 0
		.amdhsa_exception_fp_denorm_src 0
		.amdhsa_exception_fp_ieee_div_zero 0
		.amdhsa_exception_fp_ieee_overflow 0
		.amdhsa_exception_fp_ieee_underflow 0
		.amdhsa_exception_fp_ieee_inexact 0
		.amdhsa_exception_int_div_zero 0
	.end_amdhsa_kernel
	.section	.text._ZL18rocblas_rot_kernelIiLi512E19rocblas_complex_numIfEPKPS1_S4_PKS1_S6_EviT2_lllT3_lllT4_lT5_li,"axG",@progbits,_ZL18rocblas_rot_kernelIiLi512E19rocblas_complex_numIfEPKPS1_S4_PKS1_S6_EviT2_lllT3_lllT4_lT5_li,comdat
.Lfunc_end32:
	.size	_ZL18rocblas_rot_kernelIiLi512E19rocblas_complex_numIfEPKPS1_S4_PKS1_S6_EviT2_lllT3_lllT4_lT5_li, .Lfunc_end32-_ZL18rocblas_rot_kernelIiLi512E19rocblas_complex_numIfEPKPS1_S4_PKS1_S6_EviT2_lllT3_lllT4_lT5_li
                                        ; -- End function
	.set _ZL18rocblas_rot_kernelIiLi512E19rocblas_complex_numIfEPKPS1_S4_PKS1_S6_EviT2_lllT3_lllT4_lT5_li.num_vgpr, 12
	.set _ZL18rocblas_rot_kernelIiLi512E19rocblas_complex_numIfEPKPS1_S4_PKS1_S6_EviT2_lllT3_lllT4_lT5_li.num_agpr, 0
	.set _ZL18rocblas_rot_kernelIiLi512E19rocblas_complex_numIfEPKPS1_S4_PKS1_S6_EviT2_lllT3_lllT4_lT5_li.numbered_sgpr, 20
	.set _ZL18rocblas_rot_kernelIiLi512E19rocblas_complex_numIfEPKPS1_S4_PKS1_S6_EviT2_lllT3_lllT4_lT5_li.num_named_barrier, 0
	.set _ZL18rocblas_rot_kernelIiLi512E19rocblas_complex_numIfEPKPS1_S4_PKS1_S6_EviT2_lllT3_lllT4_lT5_li.private_seg_size, 0
	.set _ZL18rocblas_rot_kernelIiLi512E19rocblas_complex_numIfEPKPS1_S4_PKS1_S6_EviT2_lllT3_lllT4_lT5_li.uses_vcc, 1
	.set _ZL18rocblas_rot_kernelIiLi512E19rocblas_complex_numIfEPKPS1_S4_PKS1_S6_EviT2_lllT3_lllT4_lT5_li.uses_flat_scratch, 0
	.set _ZL18rocblas_rot_kernelIiLi512E19rocblas_complex_numIfEPKPS1_S4_PKS1_S6_EviT2_lllT3_lllT4_lT5_li.has_dyn_sized_stack, 0
	.set _ZL18rocblas_rot_kernelIiLi512E19rocblas_complex_numIfEPKPS1_S4_PKS1_S6_EviT2_lllT3_lllT4_lT5_li.has_recursion, 0
	.set _ZL18rocblas_rot_kernelIiLi512E19rocblas_complex_numIfEPKPS1_S4_PKS1_S6_EviT2_lllT3_lllT4_lT5_li.has_indirect_call, 0
	.section	.AMDGPU.csdata,"",@progbits
; Kernel info:
; codeLenInByte = 440
; TotalNumSgprs: 24
; NumVgprs: 12
; ScratchSize: 0
; MemoryBound: 0
; FloatMode: 240
; IeeeMode: 1
; LDSByteSize: 0 bytes/workgroup (compile time only)
; SGPRBlocks: 2
; VGPRBlocks: 2
; NumSGPRsForWavesPerEU: 24
; NumVGPRsForWavesPerEU: 12
; Occupancy: 10
; WaveLimiterHint : 1
; COMPUTE_PGM_RSRC2:SCRATCH_EN: 0
; COMPUTE_PGM_RSRC2:USER_SGPR: 6
; COMPUTE_PGM_RSRC2:TRAP_HANDLER: 0
; COMPUTE_PGM_RSRC2:TGID_X_EN: 1
; COMPUTE_PGM_RSRC2:TGID_Y_EN: 0
; COMPUTE_PGM_RSRC2:TGID_Z_EN: 1
; COMPUTE_PGM_RSRC2:TIDIG_COMP_CNT: 0
	.section	.text._ZL18rocblas_rot_kernelIiLi512E19rocblas_complex_numIfEPKPS1_S4_S1_S1_EviT2_lllT3_lllT4_lT5_li,"axG",@progbits,_ZL18rocblas_rot_kernelIiLi512E19rocblas_complex_numIfEPKPS1_S4_S1_S1_EviT2_lllT3_lllT4_lT5_li,comdat
	.globl	_ZL18rocblas_rot_kernelIiLi512E19rocblas_complex_numIfEPKPS1_S4_S1_S1_EviT2_lllT3_lllT4_lT5_li ; -- Begin function _ZL18rocblas_rot_kernelIiLi512E19rocblas_complex_numIfEPKPS1_S4_S1_S1_EviT2_lllT3_lllT4_lT5_li
	.p2align	8
	.type	_ZL18rocblas_rot_kernelIiLi512E19rocblas_complex_numIfEPKPS1_S4_S1_S1_EviT2_lllT3_lllT4_lT5_li,@function
_ZL18rocblas_rot_kernelIiLi512E19rocblas_complex_numIfEPKPS1_S4_S1_S1_EviT2_lllT3_lllT4_lT5_li: ; @_ZL18rocblas_rot_kernelIiLi512E19rocblas_complex_numIfEPKPS1_S4_S1_S1_EviT2_lllT3_lllT4_lT5_li
; %bb.0:
	s_load_dword s2, s[4:5], 0x0
	s_load_dword s1, s[4:5], 0x7c
	v_mov_b32_e32 v1, 0
	s_waitcnt lgkmcnt(0)
	s_ashr_i32 s3, s2, 31
	s_and_b32 s1, s1, 0xffff
	s_mul_i32 s6, s6, s1
	v_add_u32_e32 v0, s6, v0
	v_cmp_gt_i64_e32 vcc, s[2:3], v[0:1]
	s_and_saveexec_b64 s[2:3], vcc
	s_cbranch_execz .LBB33_2
; %bb.1:
	s_mov_b32 s0, s7
	s_load_dwordx4 s[8:11], s[4:5], 0x28
	s_load_dwordx2 s[6:7], s[4:5], 0x18
	s_load_dwordx2 s[12:13], s[4:5], 0x38
	s_mov_b32 s1, 0
	s_lshl_b64 s[14:15], s[0:1], 3
	s_waitcnt lgkmcnt(0)
	s_add_u32 s8, s8, s14
	s_addc_u32 s9, s9, s15
	s_load_dwordx2 s[16:17], s[8:9], 0x0
	s_load_dwordx4 s[0:3], s[4:5], 0x8
	v_mad_u64_u32 v[1:2], s[8:9], s6, v0, 0
	s_lshl_b64 s[8:9], s[10:11], 3
	s_waitcnt lgkmcnt(0)
	s_add_u32 s10, s16, s8
	s_addc_u32 s11, s17, s9
	v_mad_u64_u32 v[3:4], s[8:9], s12, v0, 0
	s_add_u32 s0, s0, s14
	s_addc_u32 s1, s1, s15
	v_mad_u64_u32 v[5:6], s[6:7], s7, v0, v[2:3]
	v_mov_b32_e32 v2, v4
	v_mad_u64_u32 v[6:7], s[6:7], s13, v0, v[2:3]
	s_load_dwordx2 s[0:1], s[0:1], 0x0
	v_mov_b32_e32 v2, v5
	v_mov_b32_e32 v4, v6
	v_lshlrev_b64 v[0:1], 3, v[1:2]
	v_lshlrev_b64 v[2:3], 3, v[3:4]
	s_lshl_b64 s[2:3], s[2:3], 3
	s_waitcnt lgkmcnt(0)
	s_add_u32 s0, s0, s2
	v_mov_b32_e32 v4, s11
	v_add_co_u32_e32 v2, vcc, s10, v2
	s_addc_u32 s1, s1, s3
	v_addc_co_u32_e32 v3, vcc, v4, v3, vcc
	v_mov_b32_e32 v6, s1
	v_add_co_u32_e32 v0, vcc, s0, v0
	flat_load_dwordx2 v[4:5], v[2:3]
	v_addc_co_u32_e32 v1, vcc, v6, v1, vcc
	flat_load_dwordx2 v[6:7], v[0:1]
	s_load_dwordx2 s[0:1], s[4:5], 0x58
	s_load_dword s2, s[4:5], 0x48
	s_waitcnt vmcnt(0) lgkmcnt(0)
	v_mul_f32_e32 v8, s1, v5
	v_fma_f32 v8, s0, v4, -v8
	v_mul_f32_e32 v9, s0, v5
	v_mul_f32_e32 v10, s1, v7
	;; [unrolled: 1-line block ×3, first 2 shown]
	v_fmac_f32_e32 v8, s2, v6
	v_fmac_f32_e32 v10, s0, v6
	v_fma_f32 v6, s0, v7, -v11
	v_fmac_f32_e32 v9, s1, v4
	v_fma_f32 v4, s2, v4, -v10
	v_fma_f32 v5, s2, v5, -v6
	v_fmac_f32_e32 v9, s2, v7
	flat_store_dwordx2 v[2:3], v[4:5]
	flat_store_dwordx2 v[0:1], v[8:9]
.LBB33_2:
	s_endpgm
	.section	.rodata,"a",@progbits
	.p2align	6, 0x0
	.amdhsa_kernel _ZL18rocblas_rot_kernelIiLi512E19rocblas_complex_numIfEPKPS1_S4_S1_S1_EviT2_lllT3_lllT4_lT5_li
		.amdhsa_group_segment_fixed_size 0
		.amdhsa_private_segment_fixed_size 0
		.amdhsa_kernarg_size 368
		.amdhsa_user_sgpr_count 6
		.amdhsa_user_sgpr_private_segment_buffer 1
		.amdhsa_user_sgpr_dispatch_ptr 0
		.amdhsa_user_sgpr_queue_ptr 0
		.amdhsa_user_sgpr_kernarg_segment_ptr 1
		.amdhsa_user_sgpr_dispatch_id 0
		.amdhsa_user_sgpr_flat_scratch_init 0
		.amdhsa_user_sgpr_private_segment_size 0
		.amdhsa_uses_dynamic_stack 0
		.amdhsa_system_sgpr_private_segment_wavefront_offset 0
		.amdhsa_system_sgpr_workgroup_id_x 1
		.amdhsa_system_sgpr_workgroup_id_y 0
		.amdhsa_system_sgpr_workgroup_id_z 1
		.amdhsa_system_sgpr_workgroup_info 0
		.amdhsa_system_vgpr_workitem_id 0
		.amdhsa_next_free_vgpr 12
		.amdhsa_next_free_sgpr 18
		.amdhsa_reserve_vcc 1
		.amdhsa_reserve_flat_scratch 0
		.amdhsa_float_round_mode_32 0
		.amdhsa_float_round_mode_16_64 0
		.amdhsa_float_denorm_mode_32 3
		.amdhsa_float_denorm_mode_16_64 3
		.amdhsa_dx10_clamp 1
		.amdhsa_ieee_mode 1
		.amdhsa_fp16_overflow 0
		.amdhsa_exception_fp_ieee_invalid_op 0
		.amdhsa_exception_fp_denorm_src 0
		.amdhsa_exception_fp_ieee_div_zero 0
		.amdhsa_exception_fp_ieee_overflow 0
		.amdhsa_exception_fp_ieee_underflow 0
		.amdhsa_exception_fp_ieee_inexact 0
		.amdhsa_exception_int_div_zero 0
	.end_amdhsa_kernel
	.section	.text._ZL18rocblas_rot_kernelIiLi512E19rocblas_complex_numIfEPKPS1_S4_S1_S1_EviT2_lllT3_lllT4_lT5_li,"axG",@progbits,_ZL18rocblas_rot_kernelIiLi512E19rocblas_complex_numIfEPKPS1_S4_S1_S1_EviT2_lllT3_lllT4_lT5_li,comdat
.Lfunc_end33:
	.size	_ZL18rocblas_rot_kernelIiLi512E19rocblas_complex_numIfEPKPS1_S4_S1_S1_EviT2_lllT3_lllT4_lT5_li, .Lfunc_end33-_ZL18rocblas_rot_kernelIiLi512E19rocblas_complex_numIfEPKPS1_S4_S1_S1_EviT2_lllT3_lllT4_lT5_li
                                        ; -- End function
	.set _ZL18rocblas_rot_kernelIiLi512E19rocblas_complex_numIfEPKPS1_S4_S1_S1_EviT2_lllT3_lllT4_lT5_li.num_vgpr, 12
	.set _ZL18rocblas_rot_kernelIiLi512E19rocblas_complex_numIfEPKPS1_S4_S1_S1_EviT2_lllT3_lllT4_lT5_li.num_agpr, 0
	.set _ZL18rocblas_rot_kernelIiLi512E19rocblas_complex_numIfEPKPS1_S4_S1_S1_EviT2_lllT3_lllT4_lT5_li.numbered_sgpr, 18
	.set _ZL18rocblas_rot_kernelIiLi512E19rocblas_complex_numIfEPKPS1_S4_S1_S1_EviT2_lllT3_lllT4_lT5_li.num_named_barrier, 0
	.set _ZL18rocblas_rot_kernelIiLi512E19rocblas_complex_numIfEPKPS1_S4_S1_S1_EviT2_lllT3_lllT4_lT5_li.private_seg_size, 0
	.set _ZL18rocblas_rot_kernelIiLi512E19rocblas_complex_numIfEPKPS1_S4_S1_S1_EviT2_lllT3_lllT4_lT5_li.uses_vcc, 1
	.set _ZL18rocblas_rot_kernelIiLi512E19rocblas_complex_numIfEPKPS1_S4_S1_S1_EviT2_lllT3_lllT4_lT5_li.uses_flat_scratch, 0
	.set _ZL18rocblas_rot_kernelIiLi512E19rocblas_complex_numIfEPKPS1_S4_S1_S1_EviT2_lllT3_lllT4_lT5_li.has_dyn_sized_stack, 0
	.set _ZL18rocblas_rot_kernelIiLi512E19rocblas_complex_numIfEPKPS1_S4_S1_S1_EviT2_lllT3_lllT4_lT5_li.has_recursion, 0
	.set _ZL18rocblas_rot_kernelIiLi512E19rocblas_complex_numIfEPKPS1_S4_S1_S1_EviT2_lllT3_lllT4_lT5_li.has_indirect_call, 0
	.section	.AMDGPU.csdata,"",@progbits
; Kernel info:
; codeLenInByte = 372
; TotalNumSgprs: 22
; NumVgprs: 12
; ScratchSize: 0
; MemoryBound: 0
; FloatMode: 240
; IeeeMode: 1
; LDSByteSize: 0 bytes/workgroup (compile time only)
; SGPRBlocks: 2
; VGPRBlocks: 2
; NumSGPRsForWavesPerEU: 22
; NumVGPRsForWavesPerEU: 12
; Occupancy: 10
; WaveLimiterHint : 1
; COMPUTE_PGM_RSRC2:SCRATCH_EN: 0
; COMPUTE_PGM_RSRC2:USER_SGPR: 6
; COMPUTE_PGM_RSRC2:TRAP_HANDLER: 0
; COMPUTE_PGM_RSRC2:TGID_X_EN: 1
; COMPUTE_PGM_RSRC2:TGID_Y_EN: 0
; COMPUTE_PGM_RSRC2:TGID_Z_EN: 1
; COMPUTE_PGM_RSRC2:TIDIG_COMP_CNT: 0
	.section	.text._ZL18rocblas_rot_kernelIiLi512E19rocblas_complex_numIdEPKPS1_S4_PKS1_S6_EviT2_lllT3_lllT4_lT5_li,"axG",@progbits,_ZL18rocblas_rot_kernelIiLi512E19rocblas_complex_numIdEPKPS1_S4_PKS1_S6_EviT2_lllT3_lllT4_lT5_li,comdat
	.globl	_ZL18rocblas_rot_kernelIiLi512E19rocblas_complex_numIdEPKPS1_S4_PKS1_S6_EviT2_lllT3_lllT4_lT5_li ; -- Begin function _ZL18rocblas_rot_kernelIiLi512E19rocblas_complex_numIdEPKPS1_S4_PKS1_S6_EviT2_lllT3_lllT4_lT5_li
	.p2align	8
	.type	_ZL18rocblas_rot_kernelIiLi512E19rocblas_complex_numIdEPKPS1_S4_PKS1_S6_EviT2_lllT3_lllT4_lT5_li,@function
_ZL18rocblas_rot_kernelIiLi512E19rocblas_complex_numIdEPKPS1_S4_PKS1_S6_EviT2_lllT3_lllT4_lT5_li: ; @_ZL18rocblas_rot_kernelIiLi512E19rocblas_complex_numIdEPKPS1_S4_PKS1_S6_EviT2_lllT3_lllT4_lT5_li
; %bb.0:
	s_load_dword s0, s[4:5], 0x0
	s_load_dword s2, s[4:5], 0x7c
	v_mov_b32_e32 v1, 0
	s_waitcnt lgkmcnt(0)
	s_ashr_i32 s1, s0, 31
	s_and_b32 s2, s2, 0xffff
	s_mul_i32 s6, s6, s2
	v_add_u32_e32 v0, s6, v0
	v_cmp_gt_i64_e32 vcc, s[0:1], v[0:1]
	s_and_saveexec_b64 s[0:1], vcc
	s_cbranch_execz .LBB34_2
; %bb.1:
	s_mov_b32 s12, s7
	s_load_dwordx4 s[0:3], s[4:5], 0x28
	s_load_dwordx2 s[6:7], s[4:5], 0x18
	s_load_dwordx2 s[14:15], s[4:5], 0x38
	s_mov_b32 s13, 0
	s_lshl_b64 s[16:17], s[12:13], 3
	s_waitcnt lgkmcnt(0)
	s_add_u32 s0, s0, s16
	s_addc_u32 s1, s1, s17
	s_load_dwordx2 s[18:19], s[0:1], 0x0
	s_load_dwordx4 s[8:11], s[4:5], 0x8
	v_mad_u64_u32 v[1:2], s[0:1], s6, v0, 0
	s_lshl_b64 s[0:1], s[2:3], 4
	s_waitcnt lgkmcnt(0)
	s_add_u32 s6, s18, s0
	s_addc_u32 s13, s19, s1
	s_add_u32 s0, s8, s16
	s_addc_u32 s1, s9, s17
	s_load_dwordx2 s[0:1], s[0:1], 0x0
	v_mad_u64_u32 v[2:3], s[2:3], s7, v0, v[2:3]
	s_lshl_b64 s[2:3], s[10:11], 4
	s_load_dwordx8 s[16:23], s[4:5], 0x48
	s_waitcnt lgkmcnt(0)
	s_add_u32 s2, s0, s2
	v_lshlrev_b64 v[1:2], 4, v[1:2]
	s_addc_u32 s3, s1, s3
	v_mov_b32_e32 v3, s3
	v_add_co_u32_e32 v13, vcc, s2, v1
	v_addc_co_u32_e32 v14, vcc, v3, v2, vcc
	flat_load_dwordx4 v[1:4], v[13:14]
	v_mad_u64_u32 v[5:6], s[0:1], s14, v0, 0
	s_mul_hi_u32 s2, s22, s12
	v_mad_u64_u32 v[6:7], s[0:1], s15, v0, v[6:7]
	v_mov_b32_e32 v0, s13
	s_mul_i32 s1, s23, s12
	v_lshlrev_b64 v[5:6], 4, v[5:6]
	s_mul_i32 s0, s22, s12
	v_add_co_u32_e32 v15, vcc, s6, v5
	v_addc_co_u32_e32 v16, vcc, v0, v6, vcc
	flat_load_dwordx4 v[5:8], v[15:16]
	s_add_i32 s1, s2, s1
	s_lshl_b64 s[0:1], s[0:1], 4
	s_add_u32 s4, s20, s0
	s_addc_u32 s5, s21, s1
	s_load_dwordx4 s[0:3], s[4:5], 0x0
	s_mul_i32 s5, s19, s12
	s_mul_hi_u32 s6, s18, s12
	s_mul_i32 s4, s18, s12
	s_add_i32 s5, s6, s5
	s_lshl_b64 s[4:5], s[4:5], 4
	s_add_u32 s4, s16, s4
	s_addc_u32 s5, s17, s5
	s_load_dwordx2 s[4:5], s[4:5], 0x0
	s_waitcnt vmcnt(0) lgkmcnt(0)
	v_mul_f64 v[11:12], s[2:3], v[1:2]
	v_mul_f64 v[9:10], s[2:3], v[3:4]
	v_fma_f64 v[11:12], s[0:1], v[3:4], -v[11:12]
	v_fma_f64 v[9:10], s[0:1], v[1:2], v[9:10]
	v_mul_f64 v[17:18], s[2:3], v[7:8]
	v_fma_f64 v[11:12], s[4:5], v[7:8], -v[11:12]
	v_mul_f64 v[7:8], s[0:1], v[7:8]
	v_fma_f64 v[9:10], s[4:5], v[5:6], -v[9:10]
	v_fma_f64 v[17:18], s[0:1], v[5:6], -v[17:18]
	v_fma_f64 v[5:6], s[2:3], v[5:6], v[7:8]
	v_fma_f64 v[0:1], s[4:5], v[1:2], v[17:18]
	;; [unrolled: 1-line block ×3, first 2 shown]
	flat_store_dwordx4 v[15:16], v[9:12]
	flat_store_dwordx4 v[13:14], v[0:3]
.LBB34_2:
	s_endpgm
	.section	.rodata,"a",@progbits
	.p2align	6, 0x0
	.amdhsa_kernel _ZL18rocblas_rot_kernelIiLi512E19rocblas_complex_numIdEPKPS1_S4_PKS1_S6_EviT2_lllT3_lllT4_lT5_li
		.amdhsa_group_segment_fixed_size 0
		.amdhsa_private_segment_fixed_size 0
		.amdhsa_kernarg_size 368
		.amdhsa_user_sgpr_count 6
		.amdhsa_user_sgpr_private_segment_buffer 1
		.amdhsa_user_sgpr_dispatch_ptr 0
		.amdhsa_user_sgpr_queue_ptr 0
		.amdhsa_user_sgpr_kernarg_segment_ptr 1
		.amdhsa_user_sgpr_dispatch_id 0
		.amdhsa_user_sgpr_flat_scratch_init 0
		.amdhsa_user_sgpr_private_segment_size 0
		.amdhsa_uses_dynamic_stack 0
		.amdhsa_system_sgpr_private_segment_wavefront_offset 0
		.amdhsa_system_sgpr_workgroup_id_x 1
		.amdhsa_system_sgpr_workgroup_id_y 0
		.amdhsa_system_sgpr_workgroup_id_z 1
		.amdhsa_system_sgpr_workgroup_info 0
		.amdhsa_system_vgpr_workitem_id 0
		.amdhsa_next_free_vgpr 19
		.amdhsa_next_free_sgpr 24
		.amdhsa_reserve_vcc 1
		.amdhsa_reserve_flat_scratch 0
		.amdhsa_float_round_mode_32 0
		.amdhsa_float_round_mode_16_64 0
		.amdhsa_float_denorm_mode_32 3
		.amdhsa_float_denorm_mode_16_64 3
		.amdhsa_dx10_clamp 1
		.amdhsa_ieee_mode 1
		.amdhsa_fp16_overflow 0
		.amdhsa_exception_fp_ieee_invalid_op 0
		.amdhsa_exception_fp_denorm_src 0
		.amdhsa_exception_fp_ieee_div_zero 0
		.amdhsa_exception_fp_ieee_overflow 0
		.amdhsa_exception_fp_ieee_underflow 0
		.amdhsa_exception_fp_ieee_inexact 0
		.amdhsa_exception_int_div_zero 0
	.end_amdhsa_kernel
	.section	.text._ZL18rocblas_rot_kernelIiLi512E19rocblas_complex_numIdEPKPS1_S4_PKS1_S6_EviT2_lllT3_lllT4_lT5_li,"axG",@progbits,_ZL18rocblas_rot_kernelIiLi512E19rocblas_complex_numIdEPKPS1_S4_PKS1_S6_EviT2_lllT3_lllT4_lT5_li,comdat
.Lfunc_end34:
	.size	_ZL18rocblas_rot_kernelIiLi512E19rocblas_complex_numIdEPKPS1_S4_PKS1_S6_EviT2_lllT3_lllT4_lT5_li, .Lfunc_end34-_ZL18rocblas_rot_kernelIiLi512E19rocblas_complex_numIdEPKPS1_S4_PKS1_S6_EviT2_lllT3_lllT4_lT5_li
                                        ; -- End function
	.set _ZL18rocblas_rot_kernelIiLi512E19rocblas_complex_numIdEPKPS1_S4_PKS1_S6_EviT2_lllT3_lllT4_lT5_li.num_vgpr, 19
	.set _ZL18rocblas_rot_kernelIiLi512E19rocblas_complex_numIdEPKPS1_S4_PKS1_S6_EviT2_lllT3_lllT4_lT5_li.num_agpr, 0
	.set _ZL18rocblas_rot_kernelIiLi512E19rocblas_complex_numIdEPKPS1_S4_PKS1_S6_EviT2_lllT3_lllT4_lT5_li.numbered_sgpr, 24
	.set _ZL18rocblas_rot_kernelIiLi512E19rocblas_complex_numIdEPKPS1_S4_PKS1_S6_EviT2_lllT3_lllT4_lT5_li.num_named_barrier, 0
	.set _ZL18rocblas_rot_kernelIiLi512E19rocblas_complex_numIdEPKPS1_S4_PKS1_S6_EviT2_lllT3_lllT4_lT5_li.private_seg_size, 0
	.set _ZL18rocblas_rot_kernelIiLi512E19rocblas_complex_numIdEPKPS1_S4_PKS1_S6_EviT2_lllT3_lllT4_lT5_li.uses_vcc, 1
	.set _ZL18rocblas_rot_kernelIiLi512E19rocblas_complex_numIdEPKPS1_S4_PKS1_S6_EviT2_lllT3_lllT4_lT5_li.uses_flat_scratch, 0
	.set _ZL18rocblas_rot_kernelIiLi512E19rocblas_complex_numIdEPKPS1_S4_PKS1_S6_EviT2_lllT3_lllT4_lT5_li.has_dyn_sized_stack, 0
	.set _ZL18rocblas_rot_kernelIiLi512E19rocblas_complex_numIdEPKPS1_S4_PKS1_S6_EviT2_lllT3_lllT4_lT5_li.has_recursion, 0
	.set _ZL18rocblas_rot_kernelIiLi512E19rocblas_complex_numIdEPKPS1_S4_PKS1_S6_EviT2_lllT3_lllT4_lT5_li.has_indirect_call, 0
	.section	.AMDGPU.csdata,"",@progbits
; Kernel info:
; codeLenInByte = 456
; TotalNumSgprs: 28
; NumVgprs: 19
; ScratchSize: 0
; MemoryBound: 0
; FloatMode: 240
; IeeeMode: 1
; LDSByteSize: 0 bytes/workgroup (compile time only)
; SGPRBlocks: 3
; VGPRBlocks: 4
; NumSGPRsForWavesPerEU: 28
; NumVGPRsForWavesPerEU: 19
; Occupancy: 10
; WaveLimiterHint : 1
; COMPUTE_PGM_RSRC2:SCRATCH_EN: 0
; COMPUTE_PGM_RSRC2:USER_SGPR: 6
; COMPUTE_PGM_RSRC2:TRAP_HANDLER: 0
; COMPUTE_PGM_RSRC2:TGID_X_EN: 1
; COMPUTE_PGM_RSRC2:TGID_Y_EN: 0
; COMPUTE_PGM_RSRC2:TGID_Z_EN: 1
; COMPUTE_PGM_RSRC2:TIDIG_COMP_CNT: 0
	.section	.text._ZL18rocblas_rot_kernelIiLi512E19rocblas_complex_numIdEPKPS1_S4_S1_S1_EviT2_lllT3_lllT4_lT5_li,"axG",@progbits,_ZL18rocblas_rot_kernelIiLi512E19rocblas_complex_numIdEPKPS1_S4_S1_S1_EviT2_lllT3_lllT4_lT5_li,comdat
	.globl	_ZL18rocblas_rot_kernelIiLi512E19rocblas_complex_numIdEPKPS1_S4_S1_S1_EviT2_lllT3_lllT4_lT5_li ; -- Begin function _ZL18rocblas_rot_kernelIiLi512E19rocblas_complex_numIdEPKPS1_S4_S1_S1_EviT2_lllT3_lllT4_lT5_li
	.p2align	8
	.type	_ZL18rocblas_rot_kernelIiLi512E19rocblas_complex_numIdEPKPS1_S4_S1_S1_EviT2_lllT3_lllT4_lT5_li,@function
_ZL18rocblas_rot_kernelIiLi512E19rocblas_complex_numIdEPKPS1_S4_S1_S1_EviT2_lllT3_lllT4_lT5_li: ; @_ZL18rocblas_rot_kernelIiLi512E19rocblas_complex_numIdEPKPS1_S4_S1_S1_EviT2_lllT3_lllT4_lT5_li
; %bb.0:
	s_load_dword s2, s[4:5], 0x0
	s_load_dword s1, s[4:5], 0x8c
	v_mov_b32_e32 v1, 0
	s_waitcnt lgkmcnt(0)
	s_ashr_i32 s3, s2, 31
	s_and_b32 s1, s1, 0xffff
	s_mul_i32 s6, s6, s1
	v_add_u32_e32 v0, s6, v0
	v_cmp_gt_i64_e32 vcc, s[2:3], v[0:1]
	s_and_saveexec_b64 s[2:3], vcc
	s_cbranch_execz .LBB35_2
; %bb.1:
	s_mov_b32 s0, s7
	s_load_dwordx4 s[8:11], s[4:5], 0x28
	s_load_dwordx2 s[6:7], s[4:5], 0x18
	s_load_dwordx2 s[12:13], s[4:5], 0x38
	s_mov_b32 s1, 0
	s_lshl_b64 s[14:15], s[0:1], 3
	s_waitcnt lgkmcnt(0)
	s_add_u32 s8, s8, s14
	s_addc_u32 s9, s9, s15
	s_load_dwordx2 s[16:17], s[8:9], 0x0
	s_load_dwordx4 s[0:3], s[4:5], 0x8
	v_mad_u64_u32 v[1:2], s[8:9], s6, v0, 0
	s_lshl_b64 s[8:9], s[10:11], 4
	s_waitcnt lgkmcnt(0)
	s_add_u32 s8, s16, s8
	s_addc_u32 s9, s17, s9
	s_add_u32 s0, s0, s14
	s_addc_u32 s1, s1, s15
	s_load_dwordx2 s[0:1], s[0:1], 0x0
	v_mad_u64_u32 v[2:3], s[6:7], s7, v0, v[2:3]
	s_lshl_b64 s[2:3], s[2:3], 4
	s_waitcnt lgkmcnt(0)
	s_add_u32 s2, s0, s2
	v_lshlrev_b64 v[1:2], 4, v[1:2]
	s_addc_u32 s3, s1, s3
	v_mov_b32_e32 v3, s3
	v_add_co_u32_e32 v13, vcc, s2, v1
	v_addc_co_u32_e32 v14, vcc, v3, v2, vcc
	flat_load_dwordx4 v[1:4], v[13:14]
	v_mad_u64_u32 v[5:6], s[0:1], s12, v0, 0
	v_mad_u64_u32 v[6:7], s[0:1], s13, v0, v[6:7]
	v_mov_b32_e32 v0, s9
	v_lshlrev_b64 v[5:6], 4, v[5:6]
	v_add_co_u32_e32 v15, vcc, s8, v5
	v_addc_co_u32_e32 v16, vcc, v0, v6, vcc
	flat_load_dwordx4 v[5:8], v[15:16]
	s_load_dwordx4 s[0:3], s[4:5], 0x60
	s_load_dwordx2 s[6:7], s[4:5], 0x48
	s_waitcnt vmcnt(0) lgkmcnt(0)
	v_mul_f64 v[11:12], s[2:3], v[1:2]
	v_mul_f64 v[9:10], s[2:3], v[3:4]
	v_fma_f64 v[11:12], s[0:1], v[3:4], -v[11:12]
	v_fma_f64 v[9:10], s[0:1], v[1:2], v[9:10]
	v_mul_f64 v[17:18], s[2:3], v[7:8]
	v_fma_f64 v[11:12], s[6:7], v[7:8], -v[11:12]
	v_mul_f64 v[7:8], s[0:1], v[7:8]
	v_fma_f64 v[9:10], s[6:7], v[5:6], -v[9:10]
	v_fma_f64 v[17:18], s[0:1], v[5:6], -v[17:18]
	v_fma_f64 v[5:6], s[2:3], v[5:6], v[7:8]
	v_fma_f64 v[0:1], s[6:7], v[1:2], v[17:18]
	v_fma_f64 v[2:3], s[6:7], v[3:4], v[5:6]
	flat_store_dwordx4 v[15:16], v[9:12]
	flat_store_dwordx4 v[13:14], v[0:3]
.LBB35_2:
	s_endpgm
	.section	.rodata,"a",@progbits
	.p2align	6, 0x0
	.amdhsa_kernel _ZL18rocblas_rot_kernelIiLi512E19rocblas_complex_numIdEPKPS1_S4_S1_S1_EviT2_lllT3_lllT4_lT5_li
		.amdhsa_group_segment_fixed_size 0
		.amdhsa_private_segment_fixed_size 0
		.amdhsa_kernarg_size 384
		.amdhsa_user_sgpr_count 6
		.amdhsa_user_sgpr_private_segment_buffer 1
		.amdhsa_user_sgpr_dispatch_ptr 0
		.amdhsa_user_sgpr_queue_ptr 0
		.amdhsa_user_sgpr_kernarg_segment_ptr 1
		.amdhsa_user_sgpr_dispatch_id 0
		.amdhsa_user_sgpr_flat_scratch_init 0
		.amdhsa_user_sgpr_private_segment_size 0
		.amdhsa_uses_dynamic_stack 0
		.amdhsa_system_sgpr_private_segment_wavefront_offset 0
		.amdhsa_system_sgpr_workgroup_id_x 1
		.amdhsa_system_sgpr_workgroup_id_y 0
		.amdhsa_system_sgpr_workgroup_id_z 1
		.amdhsa_system_sgpr_workgroup_info 0
		.amdhsa_system_vgpr_workitem_id 0
		.amdhsa_next_free_vgpr 19
		.amdhsa_next_free_sgpr 18
		.amdhsa_reserve_vcc 1
		.amdhsa_reserve_flat_scratch 0
		.amdhsa_float_round_mode_32 0
		.amdhsa_float_round_mode_16_64 0
		.amdhsa_float_denorm_mode_32 3
		.amdhsa_float_denorm_mode_16_64 3
		.amdhsa_dx10_clamp 1
		.amdhsa_ieee_mode 1
		.amdhsa_fp16_overflow 0
		.amdhsa_exception_fp_ieee_invalid_op 0
		.amdhsa_exception_fp_denorm_src 0
		.amdhsa_exception_fp_ieee_div_zero 0
		.amdhsa_exception_fp_ieee_overflow 0
		.amdhsa_exception_fp_ieee_underflow 0
		.amdhsa_exception_fp_ieee_inexact 0
		.amdhsa_exception_int_div_zero 0
	.end_amdhsa_kernel
	.section	.text._ZL18rocblas_rot_kernelIiLi512E19rocblas_complex_numIdEPKPS1_S4_S1_S1_EviT2_lllT3_lllT4_lT5_li,"axG",@progbits,_ZL18rocblas_rot_kernelIiLi512E19rocblas_complex_numIdEPKPS1_S4_S1_S1_EviT2_lllT3_lllT4_lT5_li,comdat
.Lfunc_end35:
	.size	_ZL18rocblas_rot_kernelIiLi512E19rocblas_complex_numIdEPKPS1_S4_S1_S1_EviT2_lllT3_lllT4_lT5_li, .Lfunc_end35-_ZL18rocblas_rot_kernelIiLi512E19rocblas_complex_numIdEPKPS1_S4_S1_S1_EviT2_lllT3_lllT4_lT5_li
                                        ; -- End function
	.set _ZL18rocblas_rot_kernelIiLi512E19rocblas_complex_numIdEPKPS1_S4_S1_S1_EviT2_lllT3_lllT4_lT5_li.num_vgpr, 19
	.set _ZL18rocblas_rot_kernelIiLi512E19rocblas_complex_numIdEPKPS1_S4_S1_S1_EviT2_lllT3_lllT4_lT5_li.num_agpr, 0
	.set _ZL18rocblas_rot_kernelIiLi512E19rocblas_complex_numIdEPKPS1_S4_S1_S1_EviT2_lllT3_lllT4_lT5_li.numbered_sgpr, 18
	.set _ZL18rocblas_rot_kernelIiLi512E19rocblas_complex_numIdEPKPS1_S4_S1_S1_EviT2_lllT3_lllT4_lT5_li.num_named_barrier, 0
	.set _ZL18rocblas_rot_kernelIiLi512E19rocblas_complex_numIdEPKPS1_S4_S1_S1_EviT2_lllT3_lllT4_lT5_li.private_seg_size, 0
	.set _ZL18rocblas_rot_kernelIiLi512E19rocblas_complex_numIdEPKPS1_S4_S1_S1_EviT2_lllT3_lllT4_lT5_li.uses_vcc, 1
	.set _ZL18rocblas_rot_kernelIiLi512E19rocblas_complex_numIdEPKPS1_S4_S1_S1_EviT2_lllT3_lllT4_lT5_li.uses_flat_scratch, 0
	.set _ZL18rocblas_rot_kernelIiLi512E19rocblas_complex_numIdEPKPS1_S4_S1_S1_EviT2_lllT3_lllT4_lT5_li.has_dyn_sized_stack, 0
	.set _ZL18rocblas_rot_kernelIiLi512E19rocblas_complex_numIdEPKPS1_S4_S1_S1_EviT2_lllT3_lllT4_lT5_li.has_recursion, 0
	.set _ZL18rocblas_rot_kernelIiLi512E19rocblas_complex_numIdEPKPS1_S4_S1_S1_EviT2_lllT3_lllT4_lT5_li.has_indirect_call, 0
	.section	.AMDGPU.csdata,"",@progbits
; Kernel info:
; codeLenInByte = 392
; TotalNumSgprs: 22
; NumVgprs: 19
; ScratchSize: 0
; MemoryBound: 0
; FloatMode: 240
; IeeeMode: 1
; LDSByteSize: 0 bytes/workgroup (compile time only)
; SGPRBlocks: 2
; VGPRBlocks: 4
; NumSGPRsForWavesPerEU: 22
; NumVGPRsForWavesPerEU: 19
; Occupancy: 10
; WaveLimiterHint : 1
; COMPUTE_PGM_RSRC2:SCRATCH_EN: 0
; COMPUTE_PGM_RSRC2:USER_SGPR: 6
; COMPUTE_PGM_RSRC2:TRAP_HANDLER: 0
; COMPUTE_PGM_RSRC2:TGID_X_EN: 1
; COMPUTE_PGM_RSRC2:TGID_Y_EN: 0
; COMPUTE_PGM_RSRC2:TGID_Z_EN: 1
; COMPUTE_PGM_RSRC2:TIDIG_COMP_CNT: 0
	.section	.text._ZL18rocblas_rot_kernelIiLi512E19rocblas_complex_numIdEPKPS1_S4_PKdS6_EviT2_lllT3_lllT4_lT5_li,"axG",@progbits,_ZL18rocblas_rot_kernelIiLi512E19rocblas_complex_numIdEPKPS1_S4_PKdS6_EviT2_lllT3_lllT4_lT5_li,comdat
	.globl	_ZL18rocblas_rot_kernelIiLi512E19rocblas_complex_numIdEPKPS1_S4_PKdS6_EviT2_lllT3_lllT4_lT5_li ; -- Begin function _ZL18rocblas_rot_kernelIiLi512E19rocblas_complex_numIdEPKPS1_S4_PKdS6_EviT2_lllT3_lllT4_lT5_li
	.p2align	8
	.type	_ZL18rocblas_rot_kernelIiLi512E19rocblas_complex_numIdEPKPS1_S4_PKdS6_EviT2_lllT3_lllT4_lT5_li,@function
_ZL18rocblas_rot_kernelIiLi512E19rocblas_complex_numIdEPKPS1_S4_PKdS6_EviT2_lllT3_lllT4_lT5_li: ; @_ZL18rocblas_rot_kernelIiLi512E19rocblas_complex_numIdEPKPS1_S4_PKdS6_EviT2_lllT3_lllT4_lT5_li
; %bb.0:
	s_load_dword s0, s[4:5], 0x0
	s_load_dword s2, s[4:5], 0x7c
	v_mov_b32_e32 v1, 0
	s_waitcnt lgkmcnt(0)
	s_ashr_i32 s1, s0, 31
	s_and_b32 s2, s2, 0xffff
	s_mul_i32 s6, s6, s2
	v_add_u32_e32 v0, s6, v0
	v_cmp_gt_i64_e32 vcc, s[0:1], v[0:1]
	s_and_saveexec_b64 s[0:1], vcc
	s_cbranch_execz .LBB36_2
; %bb.1:
	s_mov_b32 s8, s7
	s_load_dwordx4 s[0:3], s[4:5], 0x28
	s_load_dwordx2 s[6:7], s[4:5], 0x18
	s_load_dwordx2 s[10:11], s[4:5], 0x38
	s_mov_b32 s9, 0
	s_lshl_b64 s[16:17], s[8:9], 3
	s_waitcnt lgkmcnt(0)
	s_add_u32 s0, s0, s16
	s_addc_u32 s1, s1, s17
	s_load_dwordx2 s[18:19], s[0:1], 0x0
	s_load_dwordx4 s[12:15], s[4:5], 0x8
	v_mad_u64_u32 v[1:2], s[0:1], s6, v0, 0
	s_lshl_b64 s[0:1], s[2:3], 4
	s_waitcnt lgkmcnt(0)
	s_add_u32 s9, s18, s0
	s_addc_u32 s18, s19, s1
	s_add_u32 s0, s12, s16
	s_addc_u32 s1, s13, s17
	s_load_dwordx2 s[0:1], s[0:1], 0x0
	v_mad_u64_u32 v[4:5], s[12:13], s10, v0, 0
	v_mad_u64_u32 v[2:3], s[6:7], s7, v0, v[2:3]
	s_lshl_b64 s[2:3], s[14:15], 4
	v_mov_b32_e32 v3, v5
	v_mad_u64_u32 v[5:6], s[6:7], s11, v0, v[3:4]
	s_waitcnt lgkmcnt(0)
	s_add_u32 s0, s0, s2
	v_lshlrev_b64 v[0:1], 4, v[1:2]
	s_addc_u32 s1, s1, s3
	v_mov_b32_e32 v2, s1
	v_add_co_u32_e32 v12, vcc, s0, v0
	v_addc_co_u32_e32 v13, vcc, v2, v1, vcc
	flat_load_dwordx4 v[0:3], v[12:13]
	v_lshlrev_b64 v[4:5], 4, v[4:5]
	v_mov_b32_e32 v6, s18
	v_add_co_u32_e32 v14, vcc, s9, v4
	v_addc_co_u32_e32 v15, vcc, v6, v5, vcc
	flat_load_dwordx4 v[4:7], v[14:15]
	s_load_dwordx8 s[12:19], s[4:5], 0x48
	s_waitcnt lgkmcnt(0)
	s_mul_i32 s1, s19, s8
	s_mul_hi_u32 s2, s18, s8
	s_mul_i32 s0, s18, s8
	s_add_i32 s1, s2, s1
	s_lshl_b64 s[0:1], s[0:1], 3
	s_add_u32 s0, s16, s0
	s_addc_u32 s1, s17, s1
	s_load_dwordx2 s[0:1], s[0:1], 0x0
	s_mul_i32 s3, s15, s8
	s_mul_hi_u32 s4, s14, s8
	s_mul_i32 s2, s14, s8
	s_add_i32 s3, s4, s3
	s_lshl_b64 s[2:3], s[2:3], 3
	s_add_u32 s2, s12, s2
	s_addc_u32 s3, s13, s3
	s_load_dwordx2 s[2:3], s[2:3], 0x0
	s_waitcnt vmcnt(0) lgkmcnt(0)
	v_mul_f64 v[8:9], s[0:1], v[0:1]
	v_mul_f64 v[10:11], s[0:1], v[2:3]
	;; [unrolled: 1-line block ×3, first 2 shown]
	v_fma_f64 v[8:9], s[2:3], v[4:5], -v[8:9]
	v_mul_f64 v[4:5], s[0:1], v[6:7]
	v_fma_f64 v[10:11], s[2:3], v[6:7], -v[10:11]
	v_fma_f64 v[0:1], s[2:3], v[0:1], v[16:17]
	v_fma_f64 v[2:3], s[2:3], v[2:3], v[4:5]
	flat_store_dwordx4 v[14:15], v[8:11]
	flat_store_dwordx4 v[12:13], v[0:3]
.LBB36_2:
	s_endpgm
	.section	.rodata,"a",@progbits
	.p2align	6, 0x0
	.amdhsa_kernel _ZL18rocblas_rot_kernelIiLi512E19rocblas_complex_numIdEPKPS1_S4_PKdS6_EviT2_lllT3_lllT4_lT5_li
		.amdhsa_group_segment_fixed_size 0
		.amdhsa_private_segment_fixed_size 0
		.amdhsa_kernarg_size 368
		.amdhsa_user_sgpr_count 6
		.amdhsa_user_sgpr_private_segment_buffer 1
		.amdhsa_user_sgpr_dispatch_ptr 0
		.amdhsa_user_sgpr_queue_ptr 0
		.amdhsa_user_sgpr_kernarg_segment_ptr 1
		.amdhsa_user_sgpr_dispatch_id 0
		.amdhsa_user_sgpr_flat_scratch_init 0
		.amdhsa_user_sgpr_private_segment_size 0
		.amdhsa_uses_dynamic_stack 0
		.amdhsa_system_sgpr_private_segment_wavefront_offset 0
		.amdhsa_system_sgpr_workgroup_id_x 1
		.amdhsa_system_sgpr_workgroup_id_y 0
		.amdhsa_system_sgpr_workgroup_id_z 1
		.amdhsa_system_sgpr_workgroup_info 0
		.amdhsa_system_vgpr_workitem_id 0
		.amdhsa_next_free_vgpr 18
		.amdhsa_next_free_sgpr 20
		.amdhsa_reserve_vcc 1
		.amdhsa_reserve_flat_scratch 0
		.amdhsa_float_round_mode_32 0
		.amdhsa_float_round_mode_16_64 0
		.amdhsa_float_denorm_mode_32 3
		.amdhsa_float_denorm_mode_16_64 3
		.amdhsa_dx10_clamp 1
		.amdhsa_ieee_mode 1
		.amdhsa_fp16_overflow 0
		.amdhsa_exception_fp_ieee_invalid_op 0
		.amdhsa_exception_fp_denorm_src 0
		.amdhsa_exception_fp_ieee_div_zero 0
		.amdhsa_exception_fp_ieee_overflow 0
		.amdhsa_exception_fp_ieee_underflow 0
		.amdhsa_exception_fp_ieee_inexact 0
		.amdhsa_exception_int_div_zero 0
	.end_amdhsa_kernel
	.section	.text._ZL18rocblas_rot_kernelIiLi512E19rocblas_complex_numIdEPKPS1_S4_PKdS6_EviT2_lllT3_lllT4_lT5_li,"axG",@progbits,_ZL18rocblas_rot_kernelIiLi512E19rocblas_complex_numIdEPKPS1_S4_PKdS6_EviT2_lllT3_lllT4_lT5_li,comdat
.Lfunc_end36:
	.size	_ZL18rocblas_rot_kernelIiLi512E19rocblas_complex_numIdEPKPS1_S4_PKdS6_EviT2_lllT3_lllT4_lT5_li, .Lfunc_end36-_ZL18rocblas_rot_kernelIiLi512E19rocblas_complex_numIdEPKPS1_S4_PKdS6_EviT2_lllT3_lllT4_lT5_li
                                        ; -- End function
	.set _ZL18rocblas_rot_kernelIiLi512E19rocblas_complex_numIdEPKPS1_S4_PKdS6_EviT2_lllT3_lllT4_lT5_li.num_vgpr, 18
	.set _ZL18rocblas_rot_kernelIiLi512E19rocblas_complex_numIdEPKPS1_S4_PKdS6_EviT2_lllT3_lllT4_lT5_li.num_agpr, 0
	.set _ZL18rocblas_rot_kernelIiLi512E19rocblas_complex_numIdEPKPS1_S4_PKdS6_EviT2_lllT3_lllT4_lT5_li.numbered_sgpr, 20
	.set _ZL18rocblas_rot_kernelIiLi512E19rocblas_complex_numIdEPKPS1_S4_PKdS6_EviT2_lllT3_lllT4_lT5_li.num_named_barrier, 0
	.set _ZL18rocblas_rot_kernelIiLi512E19rocblas_complex_numIdEPKPS1_S4_PKdS6_EviT2_lllT3_lllT4_lT5_li.private_seg_size, 0
	.set _ZL18rocblas_rot_kernelIiLi512E19rocblas_complex_numIdEPKPS1_S4_PKdS6_EviT2_lllT3_lllT4_lT5_li.uses_vcc, 1
	.set _ZL18rocblas_rot_kernelIiLi512E19rocblas_complex_numIdEPKPS1_S4_PKdS6_EviT2_lllT3_lllT4_lT5_li.uses_flat_scratch, 0
	.set _ZL18rocblas_rot_kernelIiLi512E19rocblas_complex_numIdEPKPS1_S4_PKdS6_EviT2_lllT3_lllT4_lT5_li.has_dyn_sized_stack, 0
	.set _ZL18rocblas_rot_kernelIiLi512E19rocblas_complex_numIdEPKPS1_S4_PKdS6_EviT2_lllT3_lllT4_lT5_li.has_recursion, 0
	.set _ZL18rocblas_rot_kernelIiLi512E19rocblas_complex_numIdEPKPS1_S4_PKdS6_EviT2_lllT3_lllT4_lT5_li.has_indirect_call, 0
	.section	.AMDGPU.csdata,"",@progbits
; Kernel info:
; codeLenInByte = 432
; TotalNumSgprs: 24
; NumVgprs: 18
; ScratchSize: 0
; MemoryBound: 0
; FloatMode: 240
; IeeeMode: 1
; LDSByteSize: 0 bytes/workgroup (compile time only)
; SGPRBlocks: 2
; VGPRBlocks: 4
; NumSGPRsForWavesPerEU: 24
; NumVGPRsForWavesPerEU: 18
; Occupancy: 10
; WaveLimiterHint : 1
; COMPUTE_PGM_RSRC2:SCRATCH_EN: 0
; COMPUTE_PGM_RSRC2:USER_SGPR: 6
; COMPUTE_PGM_RSRC2:TRAP_HANDLER: 0
; COMPUTE_PGM_RSRC2:TGID_X_EN: 1
; COMPUTE_PGM_RSRC2:TGID_Y_EN: 0
; COMPUTE_PGM_RSRC2:TGID_Z_EN: 1
; COMPUTE_PGM_RSRC2:TIDIG_COMP_CNT: 0
	.section	.text._ZL18rocblas_rot_kernelIiLi512E19rocblas_complex_numIdEPKPS1_S4_ddEviT2_lllT3_lllT4_lT5_li,"axG",@progbits,_ZL18rocblas_rot_kernelIiLi512E19rocblas_complex_numIdEPKPS1_S4_ddEviT2_lllT3_lllT4_lT5_li,comdat
	.globl	_ZL18rocblas_rot_kernelIiLi512E19rocblas_complex_numIdEPKPS1_S4_ddEviT2_lllT3_lllT4_lT5_li ; -- Begin function _ZL18rocblas_rot_kernelIiLi512E19rocblas_complex_numIdEPKPS1_S4_ddEviT2_lllT3_lllT4_lT5_li
	.p2align	8
	.type	_ZL18rocblas_rot_kernelIiLi512E19rocblas_complex_numIdEPKPS1_S4_ddEviT2_lllT3_lllT4_lT5_li,@function
_ZL18rocblas_rot_kernelIiLi512E19rocblas_complex_numIdEPKPS1_S4_ddEviT2_lllT3_lllT4_lT5_li: ; @_ZL18rocblas_rot_kernelIiLi512E19rocblas_complex_numIdEPKPS1_S4_ddEviT2_lllT3_lllT4_lT5_li
; %bb.0:
	s_load_dword s2, s[4:5], 0x0
	s_load_dword s1, s[4:5], 0x7c
	v_mov_b32_e32 v1, 0
	s_waitcnt lgkmcnt(0)
	s_ashr_i32 s3, s2, 31
	s_and_b32 s1, s1, 0xffff
	s_mul_i32 s6, s6, s1
	v_add_u32_e32 v0, s6, v0
	v_cmp_gt_i64_e32 vcc, s[2:3], v[0:1]
	s_and_saveexec_b64 s[2:3], vcc
	s_cbranch_execz .LBB37_2
; %bb.1:
	s_mov_b32 s0, s7
	s_load_dwordx4 s[8:11], s[4:5], 0x28
	s_load_dwordx2 s[6:7], s[4:5], 0x18
	s_load_dwordx2 s[12:13], s[4:5], 0x38
	s_mov_b32 s1, 0
	s_lshl_b64 s[14:15], s[0:1], 3
	s_waitcnt lgkmcnt(0)
	s_add_u32 s8, s8, s14
	s_addc_u32 s9, s9, s15
	s_load_dwordx2 s[16:17], s[8:9], 0x0
	s_load_dwordx4 s[0:3], s[4:5], 0x8
	v_mad_u64_u32 v[1:2], s[8:9], s6, v0, 0
	s_lshl_b64 s[8:9], s[10:11], 4
	s_waitcnt lgkmcnt(0)
	s_add_u32 s10, s16, s8
	s_addc_u32 s11, s17, s9
	s_add_u32 s0, s0, s14
	s_addc_u32 s1, s1, s15
	s_load_dwordx2 s[0:1], s[0:1], 0x0
	v_mad_u64_u32 v[4:5], s[8:9], s12, v0, 0
	v_mad_u64_u32 v[2:3], s[6:7], s7, v0, v[2:3]
	s_lshl_b64 s[2:3], s[2:3], 4
	v_mov_b32_e32 v3, v5
	v_mad_u64_u32 v[5:6], s[6:7], s13, v0, v[3:4]
	s_waitcnt lgkmcnt(0)
	s_add_u32 s0, s0, s2
	v_lshlrev_b64 v[0:1], 4, v[1:2]
	s_addc_u32 s1, s1, s3
	v_mov_b32_e32 v2, s1
	v_add_co_u32_e32 v12, vcc, s0, v0
	v_addc_co_u32_e32 v13, vcc, v2, v1, vcc
	flat_load_dwordx4 v[0:3], v[12:13]
	v_lshlrev_b64 v[4:5], 4, v[4:5]
	v_mov_b32_e32 v6, s11
	v_add_co_u32_e32 v14, vcc, s10, v4
	v_addc_co_u32_e32 v15, vcc, v6, v5, vcc
	flat_load_dwordx4 v[4:7], v[14:15]
	s_load_dwordx2 s[0:1], s[4:5], 0x58
	s_load_dwordx2 s[2:3], s[4:5], 0x48
	s_waitcnt vmcnt(0) lgkmcnt(0)
	v_mul_f64 v[8:9], s[0:1], v[0:1]
	v_mul_f64 v[10:11], s[0:1], v[2:3]
	;; [unrolled: 1-line block ×3, first 2 shown]
	v_fma_f64 v[8:9], s[2:3], v[4:5], -v[8:9]
	v_mul_f64 v[4:5], s[0:1], v[6:7]
	v_fma_f64 v[10:11], s[2:3], v[6:7], -v[10:11]
	v_fma_f64 v[0:1], s[2:3], v[0:1], v[16:17]
	v_fma_f64 v[2:3], s[2:3], v[2:3], v[4:5]
	flat_store_dwordx4 v[14:15], v[8:11]
	flat_store_dwordx4 v[12:13], v[0:3]
.LBB37_2:
	s_endpgm
	.section	.rodata,"a",@progbits
	.p2align	6, 0x0
	.amdhsa_kernel _ZL18rocblas_rot_kernelIiLi512E19rocblas_complex_numIdEPKPS1_S4_ddEviT2_lllT3_lllT4_lT5_li
		.amdhsa_group_segment_fixed_size 0
		.amdhsa_private_segment_fixed_size 0
		.amdhsa_kernarg_size 368
		.amdhsa_user_sgpr_count 6
		.amdhsa_user_sgpr_private_segment_buffer 1
		.amdhsa_user_sgpr_dispatch_ptr 0
		.amdhsa_user_sgpr_queue_ptr 0
		.amdhsa_user_sgpr_kernarg_segment_ptr 1
		.amdhsa_user_sgpr_dispatch_id 0
		.amdhsa_user_sgpr_flat_scratch_init 0
		.amdhsa_user_sgpr_private_segment_size 0
		.amdhsa_uses_dynamic_stack 0
		.amdhsa_system_sgpr_private_segment_wavefront_offset 0
		.amdhsa_system_sgpr_workgroup_id_x 1
		.amdhsa_system_sgpr_workgroup_id_y 0
		.amdhsa_system_sgpr_workgroup_id_z 1
		.amdhsa_system_sgpr_workgroup_info 0
		.amdhsa_system_vgpr_workitem_id 0
		.amdhsa_next_free_vgpr 18
		.amdhsa_next_free_sgpr 18
		.amdhsa_reserve_vcc 1
		.amdhsa_reserve_flat_scratch 0
		.amdhsa_float_round_mode_32 0
		.amdhsa_float_round_mode_16_64 0
		.amdhsa_float_denorm_mode_32 3
		.amdhsa_float_denorm_mode_16_64 3
		.amdhsa_dx10_clamp 1
		.amdhsa_ieee_mode 1
		.amdhsa_fp16_overflow 0
		.amdhsa_exception_fp_ieee_invalid_op 0
		.amdhsa_exception_fp_denorm_src 0
		.amdhsa_exception_fp_ieee_div_zero 0
		.amdhsa_exception_fp_ieee_overflow 0
		.amdhsa_exception_fp_ieee_underflow 0
		.amdhsa_exception_fp_ieee_inexact 0
		.amdhsa_exception_int_div_zero 0
	.end_amdhsa_kernel
	.section	.text._ZL18rocblas_rot_kernelIiLi512E19rocblas_complex_numIdEPKPS1_S4_ddEviT2_lllT3_lllT4_lT5_li,"axG",@progbits,_ZL18rocblas_rot_kernelIiLi512E19rocblas_complex_numIdEPKPS1_S4_ddEviT2_lllT3_lllT4_lT5_li,comdat
.Lfunc_end37:
	.size	_ZL18rocblas_rot_kernelIiLi512E19rocblas_complex_numIdEPKPS1_S4_ddEviT2_lllT3_lllT4_lT5_li, .Lfunc_end37-_ZL18rocblas_rot_kernelIiLi512E19rocblas_complex_numIdEPKPS1_S4_ddEviT2_lllT3_lllT4_lT5_li
                                        ; -- End function
	.set _ZL18rocblas_rot_kernelIiLi512E19rocblas_complex_numIdEPKPS1_S4_ddEviT2_lllT3_lllT4_lT5_li.num_vgpr, 18
	.set _ZL18rocblas_rot_kernelIiLi512E19rocblas_complex_numIdEPKPS1_S4_ddEviT2_lllT3_lllT4_lT5_li.num_agpr, 0
	.set _ZL18rocblas_rot_kernelIiLi512E19rocblas_complex_numIdEPKPS1_S4_ddEviT2_lllT3_lllT4_lT5_li.numbered_sgpr, 18
	.set _ZL18rocblas_rot_kernelIiLi512E19rocblas_complex_numIdEPKPS1_S4_ddEviT2_lllT3_lllT4_lT5_li.num_named_barrier, 0
	.set _ZL18rocblas_rot_kernelIiLi512E19rocblas_complex_numIdEPKPS1_S4_ddEviT2_lllT3_lllT4_lT5_li.private_seg_size, 0
	.set _ZL18rocblas_rot_kernelIiLi512E19rocblas_complex_numIdEPKPS1_S4_ddEviT2_lllT3_lllT4_lT5_li.uses_vcc, 1
	.set _ZL18rocblas_rot_kernelIiLi512E19rocblas_complex_numIdEPKPS1_S4_ddEviT2_lllT3_lllT4_lT5_li.uses_flat_scratch, 0
	.set _ZL18rocblas_rot_kernelIiLi512E19rocblas_complex_numIdEPKPS1_S4_ddEviT2_lllT3_lllT4_lT5_li.has_dyn_sized_stack, 0
	.set _ZL18rocblas_rot_kernelIiLi512E19rocblas_complex_numIdEPKPS1_S4_ddEviT2_lllT3_lllT4_lT5_li.has_recursion, 0
	.set _ZL18rocblas_rot_kernelIiLi512E19rocblas_complex_numIdEPKPS1_S4_ddEviT2_lllT3_lllT4_lT5_li.has_indirect_call, 0
	.section	.AMDGPU.csdata,"",@progbits
; Kernel info:
; codeLenInByte = 364
; TotalNumSgprs: 22
; NumVgprs: 18
; ScratchSize: 0
; MemoryBound: 0
; FloatMode: 240
; IeeeMode: 1
; LDSByteSize: 0 bytes/workgroup (compile time only)
; SGPRBlocks: 2
; VGPRBlocks: 4
; NumSGPRsForWavesPerEU: 22
; NumVGPRsForWavesPerEU: 18
; Occupancy: 10
; WaveLimiterHint : 1
; COMPUTE_PGM_RSRC2:SCRATCH_EN: 0
; COMPUTE_PGM_RSRC2:USER_SGPR: 6
; COMPUTE_PGM_RSRC2:TRAP_HANDLER: 0
; COMPUTE_PGM_RSRC2:TGID_X_EN: 1
; COMPUTE_PGM_RSRC2:TGID_Y_EN: 0
; COMPUTE_PGM_RSRC2:TGID_Z_EN: 1
; COMPUTE_PGM_RSRC2:TIDIG_COMP_CNT: 0
	.section	.text._ZL18rocblas_rot_kernelIiLi512E19rocblas_complex_numIdEPKPS1_S4_PKdPKS1_EviT2_lllT3_lllT4_lT5_li,"axG",@progbits,_ZL18rocblas_rot_kernelIiLi512E19rocblas_complex_numIdEPKPS1_S4_PKdPKS1_EviT2_lllT3_lllT4_lT5_li,comdat
	.globl	_ZL18rocblas_rot_kernelIiLi512E19rocblas_complex_numIdEPKPS1_S4_PKdPKS1_EviT2_lllT3_lllT4_lT5_li ; -- Begin function _ZL18rocblas_rot_kernelIiLi512E19rocblas_complex_numIdEPKPS1_S4_PKdPKS1_EviT2_lllT3_lllT4_lT5_li
	.p2align	8
	.type	_ZL18rocblas_rot_kernelIiLi512E19rocblas_complex_numIdEPKPS1_S4_PKdPKS1_EviT2_lllT3_lllT4_lT5_li,@function
_ZL18rocblas_rot_kernelIiLi512E19rocblas_complex_numIdEPKPS1_S4_PKdPKS1_EviT2_lllT3_lllT4_lT5_li: ; @_ZL18rocblas_rot_kernelIiLi512E19rocblas_complex_numIdEPKPS1_S4_PKdPKS1_EviT2_lllT3_lllT4_lT5_li
; %bb.0:
	s_load_dword s0, s[4:5], 0x0
	s_load_dword s2, s[4:5], 0x7c
	v_mov_b32_e32 v1, 0
	s_waitcnt lgkmcnt(0)
	s_ashr_i32 s1, s0, 31
	s_and_b32 s2, s2, 0xffff
	s_mul_i32 s6, s6, s2
	v_add_u32_e32 v0, s6, v0
	v_cmp_gt_i64_e32 vcc, s[0:1], v[0:1]
	s_and_saveexec_b64 s[0:1], vcc
	s_cbranch_execz .LBB38_2
; %bb.1:
	s_mov_b32 s12, s7
	s_load_dwordx4 s[0:3], s[4:5], 0x28
	s_load_dwordx2 s[6:7], s[4:5], 0x18
	s_load_dwordx2 s[14:15], s[4:5], 0x38
	s_mov_b32 s13, 0
	s_lshl_b64 s[16:17], s[12:13], 3
	s_waitcnt lgkmcnt(0)
	s_add_u32 s0, s0, s16
	s_addc_u32 s1, s1, s17
	s_load_dwordx2 s[18:19], s[0:1], 0x0
	s_load_dwordx4 s[8:11], s[4:5], 0x8
	v_mad_u64_u32 v[1:2], s[0:1], s6, v0, 0
	s_lshl_b64 s[0:1], s[2:3], 4
	s_waitcnt lgkmcnt(0)
	s_add_u32 s6, s18, s0
	s_addc_u32 s13, s19, s1
	s_add_u32 s0, s8, s16
	s_addc_u32 s1, s9, s17
	s_load_dwordx2 s[0:1], s[0:1], 0x0
	v_mad_u64_u32 v[2:3], s[2:3], s7, v0, v[2:3]
	s_lshl_b64 s[2:3], s[10:11], 4
	s_load_dwordx8 s[16:23], s[4:5], 0x48
	s_waitcnt lgkmcnt(0)
	s_add_u32 s2, s0, s2
	v_lshlrev_b64 v[1:2], 4, v[1:2]
	s_addc_u32 s3, s1, s3
	v_mov_b32_e32 v3, s3
	v_add_co_u32_e32 v13, vcc, s2, v1
	v_addc_co_u32_e32 v14, vcc, v3, v2, vcc
	flat_load_dwordx4 v[1:4], v[13:14]
	v_mad_u64_u32 v[5:6], s[0:1], s14, v0, 0
	s_mul_hi_u32 s2, s22, s12
	v_mad_u64_u32 v[6:7], s[0:1], s15, v0, v[6:7]
	v_mov_b32_e32 v0, s13
	s_mul_i32 s1, s23, s12
	v_lshlrev_b64 v[5:6], 4, v[5:6]
	s_mul_i32 s0, s22, s12
	v_add_co_u32_e32 v15, vcc, s6, v5
	v_addc_co_u32_e32 v16, vcc, v0, v6, vcc
	flat_load_dwordx4 v[5:8], v[15:16]
	s_add_i32 s1, s2, s1
	s_lshl_b64 s[0:1], s[0:1], 4
	s_add_u32 s4, s20, s0
	s_addc_u32 s5, s21, s1
	s_load_dwordx4 s[0:3], s[4:5], 0x0
	s_mul_i32 s5, s19, s12
	s_mul_hi_u32 s6, s18, s12
	s_mul_i32 s4, s18, s12
	s_add_i32 s5, s6, s5
	s_lshl_b64 s[4:5], s[4:5], 3
	s_add_u32 s4, s16, s4
	s_addc_u32 s5, s17, s5
	s_load_dwordx2 s[4:5], s[4:5], 0x0
	s_waitcnt vmcnt(0) lgkmcnt(0)
	v_mul_f64 v[11:12], s[2:3], v[1:2]
	v_mul_f64 v[9:10], s[2:3], v[3:4]
	v_fma_f64 v[11:12], s[0:1], v[3:4], -v[11:12]
	v_fma_f64 v[9:10], s[0:1], v[1:2], v[9:10]
	v_mul_f64 v[17:18], s[2:3], v[7:8]
	v_fma_f64 v[11:12], s[4:5], v[7:8], -v[11:12]
	v_mul_f64 v[7:8], s[0:1], v[7:8]
	v_fma_f64 v[9:10], s[4:5], v[5:6], -v[9:10]
	v_fma_f64 v[17:18], s[0:1], v[5:6], -v[17:18]
	v_fma_f64 v[5:6], s[2:3], v[5:6], v[7:8]
	v_fma_f64 v[0:1], s[4:5], v[1:2], v[17:18]
	;; [unrolled: 1-line block ×3, first 2 shown]
	flat_store_dwordx4 v[15:16], v[9:12]
	flat_store_dwordx4 v[13:14], v[0:3]
.LBB38_2:
	s_endpgm
	.section	.rodata,"a",@progbits
	.p2align	6, 0x0
	.amdhsa_kernel _ZL18rocblas_rot_kernelIiLi512E19rocblas_complex_numIdEPKPS1_S4_PKdPKS1_EviT2_lllT3_lllT4_lT5_li
		.amdhsa_group_segment_fixed_size 0
		.amdhsa_private_segment_fixed_size 0
		.amdhsa_kernarg_size 368
		.amdhsa_user_sgpr_count 6
		.amdhsa_user_sgpr_private_segment_buffer 1
		.amdhsa_user_sgpr_dispatch_ptr 0
		.amdhsa_user_sgpr_queue_ptr 0
		.amdhsa_user_sgpr_kernarg_segment_ptr 1
		.amdhsa_user_sgpr_dispatch_id 0
		.amdhsa_user_sgpr_flat_scratch_init 0
		.amdhsa_user_sgpr_private_segment_size 0
		.amdhsa_uses_dynamic_stack 0
		.amdhsa_system_sgpr_private_segment_wavefront_offset 0
		.amdhsa_system_sgpr_workgroup_id_x 1
		.amdhsa_system_sgpr_workgroup_id_y 0
		.amdhsa_system_sgpr_workgroup_id_z 1
		.amdhsa_system_sgpr_workgroup_info 0
		.amdhsa_system_vgpr_workitem_id 0
		.amdhsa_next_free_vgpr 19
		.amdhsa_next_free_sgpr 24
		.amdhsa_reserve_vcc 1
		.amdhsa_reserve_flat_scratch 0
		.amdhsa_float_round_mode_32 0
		.amdhsa_float_round_mode_16_64 0
		.amdhsa_float_denorm_mode_32 3
		.amdhsa_float_denorm_mode_16_64 3
		.amdhsa_dx10_clamp 1
		.amdhsa_ieee_mode 1
		.amdhsa_fp16_overflow 0
		.amdhsa_exception_fp_ieee_invalid_op 0
		.amdhsa_exception_fp_denorm_src 0
		.amdhsa_exception_fp_ieee_div_zero 0
		.amdhsa_exception_fp_ieee_overflow 0
		.amdhsa_exception_fp_ieee_underflow 0
		.amdhsa_exception_fp_ieee_inexact 0
		.amdhsa_exception_int_div_zero 0
	.end_amdhsa_kernel
	.section	.text._ZL18rocblas_rot_kernelIiLi512E19rocblas_complex_numIdEPKPS1_S4_PKdPKS1_EviT2_lllT3_lllT4_lT5_li,"axG",@progbits,_ZL18rocblas_rot_kernelIiLi512E19rocblas_complex_numIdEPKPS1_S4_PKdPKS1_EviT2_lllT3_lllT4_lT5_li,comdat
.Lfunc_end38:
	.size	_ZL18rocblas_rot_kernelIiLi512E19rocblas_complex_numIdEPKPS1_S4_PKdPKS1_EviT2_lllT3_lllT4_lT5_li, .Lfunc_end38-_ZL18rocblas_rot_kernelIiLi512E19rocblas_complex_numIdEPKPS1_S4_PKdPKS1_EviT2_lllT3_lllT4_lT5_li
                                        ; -- End function
	.set _ZL18rocblas_rot_kernelIiLi512E19rocblas_complex_numIdEPKPS1_S4_PKdPKS1_EviT2_lllT3_lllT4_lT5_li.num_vgpr, 19
	.set _ZL18rocblas_rot_kernelIiLi512E19rocblas_complex_numIdEPKPS1_S4_PKdPKS1_EviT2_lllT3_lllT4_lT5_li.num_agpr, 0
	.set _ZL18rocblas_rot_kernelIiLi512E19rocblas_complex_numIdEPKPS1_S4_PKdPKS1_EviT2_lllT3_lllT4_lT5_li.numbered_sgpr, 24
	.set _ZL18rocblas_rot_kernelIiLi512E19rocblas_complex_numIdEPKPS1_S4_PKdPKS1_EviT2_lllT3_lllT4_lT5_li.num_named_barrier, 0
	.set _ZL18rocblas_rot_kernelIiLi512E19rocblas_complex_numIdEPKPS1_S4_PKdPKS1_EviT2_lllT3_lllT4_lT5_li.private_seg_size, 0
	.set _ZL18rocblas_rot_kernelIiLi512E19rocblas_complex_numIdEPKPS1_S4_PKdPKS1_EviT2_lllT3_lllT4_lT5_li.uses_vcc, 1
	.set _ZL18rocblas_rot_kernelIiLi512E19rocblas_complex_numIdEPKPS1_S4_PKdPKS1_EviT2_lllT3_lllT4_lT5_li.uses_flat_scratch, 0
	.set _ZL18rocblas_rot_kernelIiLi512E19rocblas_complex_numIdEPKPS1_S4_PKdPKS1_EviT2_lllT3_lllT4_lT5_li.has_dyn_sized_stack, 0
	.set _ZL18rocblas_rot_kernelIiLi512E19rocblas_complex_numIdEPKPS1_S4_PKdPKS1_EviT2_lllT3_lllT4_lT5_li.has_recursion, 0
	.set _ZL18rocblas_rot_kernelIiLi512E19rocblas_complex_numIdEPKPS1_S4_PKdPKS1_EviT2_lllT3_lllT4_lT5_li.has_indirect_call, 0
	.section	.AMDGPU.csdata,"",@progbits
; Kernel info:
; codeLenInByte = 456
; TotalNumSgprs: 28
; NumVgprs: 19
; ScratchSize: 0
; MemoryBound: 0
; FloatMode: 240
; IeeeMode: 1
; LDSByteSize: 0 bytes/workgroup (compile time only)
; SGPRBlocks: 3
; VGPRBlocks: 4
; NumSGPRsForWavesPerEU: 28
; NumVGPRsForWavesPerEU: 19
; Occupancy: 10
; WaveLimiterHint : 1
; COMPUTE_PGM_RSRC2:SCRATCH_EN: 0
; COMPUTE_PGM_RSRC2:USER_SGPR: 6
; COMPUTE_PGM_RSRC2:TRAP_HANDLER: 0
; COMPUTE_PGM_RSRC2:TGID_X_EN: 1
; COMPUTE_PGM_RSRC2:TGID_Y_EN: 0
; COMPUTE_PGM_RSRC2:TGID_Z_EN: 1
; COMPUTE_PGM_RSRC2:TIDIG_COMP_CNT: 0
	.section	.text._ZL18rocblas_rot_kernelIiLi512E19rocblas_complex_numIdEPKPS1_S4_dS1_EviT2_lllT3_lllT4_lT5_li,"axG",@progbits,_ZL18rocblas_rot_kernelIiLi512E19rocblas_complex_numIdEPKPS1_S4_dS1_EviT2_lllT3_lllT4_lT5_li,comdat
	.globl	_ZL18rocblas_rot_kernelIiLi512E19rocblas_complex_numIdEPKPS1_S4_dS1_EviT2_lllT3_lllT4_lT5_li ; -- Begin function _ZL18rocblas_rot_kernelIiLi512E19rocblas_complex_numIdEPKPS1_S4_dS1_EviT2_lllT3_lllT4_lT5_li
	.p2align	8
	.type	_ZL18rocblas_rot_kernelIiLi512E19rocblas_complex_numIdEPKPS1_S4_dS1_EviT2_lllT3_lllT4_lT5_li,@function
_ZL18rocblas_rot_kernelIiLi512E19rocblas_complex_numIdEPKPS1_S4_dS1_EviT2_lllT3_lllT4_lT5_li: ; @_ZL18rocblas_rot_kernelIiLi512E19rocblas_complex_numIdEPKPS1_S4_dS1_EviT2_lllT3_lllT4_lT5_li
; %bb.0:
	s_load_dword s2, s[4:5], 0x0
	s_load_dword s1, s[4:5], 0x84
	v_mov_b32_e32 v1, 0
	s_waitcnt lgkmcnt(0)
	s_ashr_i32 s3, s2, 31
	s_and_b32 s1, s1, 0xffff
	s_mul_i32 s6, s6, s1
	v_add_u32_e32 v0, s6, v0
	v_cmp_gt_i64_e32 vcc, s[2:3], v[0:1]
	s_and_saveexec_b64 s[2:3], vcc
	s_cbranch_execz .LBB39_2
; %bb.1:
	s_mov_b32 s0, s7
	s_load_dwordx4 s[8:11], s[4:5], 0x28
	s_load_dwordx2 s[6:7], s[4:5], 0x18
	s_load_dwordx2 s[12:13], s[4:5], 0x38
	s_mov_b32 s1, 0
	s_lshl_b64 s[14:15], s[0:1], 3
	s_waitcnt lgkmcnt(0)
	s_add_u32 s8, s8, s14
	s_addc_u32 s9, s9, s15
	s_load_dwordx2 s[16:17], s[8:9], 0x0
	s_load_dwordx4 s[0:3], s[4:5], 0x8
	v_mad_u64_u32 v[1:2], s[8:9], s6, v0, 0
	s_lshl_b64 s[8:9], s[10:11], 4
	s_waitcnt lgkmcnt(0)
	s_add_u32 s8, s16, s8
	s_addc_u32 s9, s17, s9
	s_add_u32 s0, s0, s14
	s_addc_u32 s1, s1, s15
	s_load_dwordx2 s[0:1], s[0:1], 0x0
	v_mad_u64_u32 v[2:3], s[6:7], s7, v0, v[2:3]
	s_lshl_b64 s[2:3], s[2:3], 4
	s_waitcnt lgkmcnt(0)
	s_add_u32 s2, s0, s2
	v_lshlrev_b64 v[1:2], 4, v[1:2]
	s_addc_u32 s3, s1, s3
	v_mov_b32_e32 v3, s3
	v_add_co_u32_e32 v13, vcc, s2, v1
	v_addc_co_u32_e32 v14, vcc, v3, v2, vcc
	flat_load_dwordx4 v[1:4], v[13:14]
	v_mad_u64_u32 v[5:6], s[0:1], s12, v0, 0
	v_mad_u64_u32 v[6:7], s[0:1], s13, v0, v[6:7]
	v_mov_b32_e32 v0, s9
	s_load_dwordx4 s[0:3], s[4:5], 0x58
	v_lshlrev_b64 v[5:6], 4, v[5:6]
	s_load_dwordx2 s[4:5], s[4:5], 0x48
	v_add_co_u32_e32 v15, vcc, s8, v5
	v_addc_co_u32_e32 v16, vcc, v0, v6, vcc
	flat_load_dwordx4 v[5:8], v[15:16]
	s_waitcnt vmcnt(0) lgkmcnt(0)
	v_mul_f64 v[11:12], s[2:3], v[1:2]
	v_mul_f64 v[9:10], s[2:3], v[3:4]
	v_fma_f64 v[11:12], s[0:1], v[3:4], -v[11:12]
	v_fma_f64 v[9:10], s[0:1], v[1:2], v[9:10]
	v_mul_f64 v[17:18], s[2:3], v[7:8]
	v_fma_f64 v[11:12], s[4:5], v[7:8], -v[11:12]
	v_mul_f64 v[7:8], s[0:1], v[7:8]
	v_fma_f64 v[9:10], s[4:5], v[5:6], -v[9:10]
	v_fma_f64 v[17:18], s[0:1], v[5:6], -v[17:18]
	v_fma_f64 v[5:6], s[2:3], v[5:6], v[7:8]
	v_fma_f64 v[0:1], s[4:5], v[1:2], v[17:18]
	;; [unrolled: 1-line block ×3, first 2 shown]
	flat_store_dwordx4 v[15:16], v[9:12]
	flat_store_dwordx4 v[13:14], v[0:3]
.LBB39_2:
	s_endpgm
	.section	.rodata,"a",@progbits
	.p2align	6, 0x0
	.amdhsa_kernel _ZL18rocblas_rot_kernelIiLi512E19rocblas_complex_numIdEPKPS1_S4_dS1_EviT2_lllT3_lllT4_lT5_li
		.amdhsa_group_segment_fixed_size 0
		.amdhsa_private_segment_fixed_size 0
		.amdhsa_kernarg_size 376
		.amdhsa_user_sgpr_count 6
		.amdhsa_user_sgpr_private_segment_buffer 1
		.amdhsa_user_sgpr_dispatch_ptr 0
		.amdhsa_user_sgpr_queue_ptr 0
		.amdhsa_user_sgpr_kernarg_segment_ptr 1
		.amdhsa_user_sgpr_dispatch_id 0
		.amdhsa_user_sgpr_flat_scratch_init 0
		.amdhsa_user_sgpr_private_segment_size 0
		.amdhsa_uses_dynamic_stack 0
		.amdhsa_system_sgpr_private_segment_wavefront_offset 0
		.amdhsa_system_sgpr_workgroup_id_x 1
		.amdhsa_system_sgpr_workgroup_id_y 0
		.amdhsa_system_sgpr_workgroup_id_z 1
		.amdhsa_system_sgpr_workgroup_info 0
		.amdhsa_system_vgpr_workitem_id 0
		.amdhsa_next_free_vgpr 19
		.amdhsa_next_free_sgpr 18
		.amdhsa_reserve_vcc 1
		.amdhsa_reserve_flat_scratch 0
		.amdhsa_float_round_mode_32 0
		.amdhsa_float_round_mode_16_64 0
		.amdhsa_float_denorm_mode_32 3
		.amdhsa_float_denorm_mode_16_64 3
		.amdhsa_dx10_clamp 1
		.amdhsa_ieee_mode 1
		.amdhsa_fp16_overflow 0
		.amdhsa_exception_fp_ieee_invalid_op 0
		.amdhsa_exception_fp_denorm_src 0
		.amdhsa_exception_fp_ieee_div_zero 0
		.amdhsa_exception_fp_ieee_overflow 0
		.amdhsa_exception_fp_ieee_underflow 0
		.amdhsa_exception_fp_ieee_inexact 0
		.amdhsa_exception_int_div_zero 0
	.end_amdhsa_kernel
	.section	.text._ZL18rocblas_rot_kernelIiLi512E19rocblas_complex_numIdEPKPS1_S4_dS1_EviT2_lllT3_lllT4_lT5_li,"axG",@progbits,_ZL18rocblas_rot_kernelIiLi512E19rocblas_complex_numIdEPKPS1_S4_dS1_EviT2_lllT3_lllT4_lT5_li,comdat
.Lfunc_end39:
	.size	_ZL18rocblas_rot_kernelIiLi512E19rocblas_complex_numIdEPKPS1_S4_dS1_EviT2_lllT3_lllT4_lT5_li, .Lfunc_end39-_ZL18rocblas_rot_kernelIiLi512E19rocblas_complex_numIdEPKPS1_S4_dS1_EviT2_lllT3_lllT4_lT5_li
                                        ; -- End function
	.set _ZL18rocblas_rot_kernelIiLi512E19rocblas_complex_numIdEPKPS1_S4_dS1_EviT2_lllT3_lllT4_lT5_li.num_vgpr, 19
	.set _ZL18rocblas_rot_kernelIiLi512E19rocblas_complex_numIdEPKPS1_S4_dS1_EviT2_lllT3_lllT4_lT5_li.num_agpr, 0
	.set _ZL18rocblas_rot_kernelIiLi512E19rocblas_complex_numIdEPKPS1_S4_dS1_EviT2_lllT3_lllT4_lT5_li.numbered_sgpr, 18
	.set _ZL18rocblas_rot_kernelIiLi512E19rocblas_complex_numIdEPKPS1_S4_dS1_EviT2_lllT3_lllT4_lT5_li.num_named_barrier, 0
	.set _ZL18rocblas_rot_kernelIiLi512E19rocblas_complex_numIdEPKPS1_S4_dS1_EviT2_lllT3_lllT4_lT5_li.private_seg_size, 0
	.set _ZL18rocblas_rot_kernelIiLi512E19rocblas_complex_numIdEPKPS1_S4_dS1_EviT2_lllT3_lllT4_lT5_li.uses_vcc, 1
	.set _ZL18rocblas_rot_kernelIiLi512E19rocblas_complex_numIdEPKPS1_S4_dS1_EviT2_lllT3_lllT4_lT5_li.uses_flat_scratch, 0
	.set _ZL18rocblas_rot_kernelIiLi512E19rocblas_complex_numIdEPKPS1_S4_dS1_EviT2_lllT3_lllT4_lT5_li.has_dyn_sized_stack, 0
	.set _ZL18rocblas_rot_kernelIiLi512E19rocblas_complex_numIdEPKPS1_S4_dS1_EviT2_lllT3_lllT4_lT5_li.has_recursion, 0
	.set _ZL18rocblas_rot_kernelIiLi512E19rocblas_complex_numIdEPKPS1_S4_dS1_EviT2_lllT3_lllT4_lT5_li.has_indirect_call, 0
	.section	.AMDGPU.csdata,"",@progbits
; Kernel info:
; codeLenInByte = 392
; TotalNumSgprs: 22
; NumVgprs: 19
; ScratchSize: 0
; MemoryBound: 0
; FloatMode: 240
; IeeeMode: 1
; LDSByteSize: 0 bytes/workgroup (compile time only)
; SGPRBlocks: 2
; VGPRBlocks: 4
; NumSGPRsForWavesPerEU: 22
; NumVGPRsForWavesPerEU: 19
; Occupancy: 10
; WaveLimiterHint : 1
; COMPUTE_PGM_RSRC2:SCRATCH_EN: 0
; COMPUTE_PGM_RSRC2:USER_SGPR: 6
; COMPUTE_PGM_RSRC2:TRAP_HANDLER: 0
; COMPUTE_PGM_RSRC2:TGID_X_EN: 1
; COMPUTE_PGM_RSRC2:TGID_Y_EN: 0
; COMPUTE_PGM_RSRC2:TGID_Z_EN: 1
; COMPUTE_PGM_RSRC2:TIDIG_COMP_CNT: 0
	.section	.AMDGPU.gpr_maximums,"",@progbits
	.set amdgpu.max_num_vgpr, 0
	.set amdgpu.max_num_agpr, 0
	.set amdgpu.max_num_sgpr, 0
	.section	.AMDGPU.csdata,"",@progbits
	.type	__hip_cuid_71b09ccacb87d4f4,@object ; @__hip_cuid_71b09ccacb87d4f4
	.section	.bss,"aw",@nobits
	.globl	__hip_cuid_71b09ccacb87d4f4
__hip_cuid_71b09ccacb87d4f4:
	.byte	0                               ; 0x0
	.size	__hip_cuid_71b09ccacb87d4f4, 1

	.ident	"AMD clang version 22.0.0git (https://github.com/RadeonOpenCompute/llvm-project roc-7.2.4 26084 f58b06dce1f9c15707c5f808fd002e18c2accf7e)"
	.section	".note.GNU-stack","",@progbits
	.addrsig
	.addrsig_sym __hip_cuid_71b09ccacb87d4f4
	.amdgpu_metadata
---
amdhsa.kernels:
  - .args:
      - .offset:         0
        .size:           4
        .value_kind:     by_value
      - .address_space:  global
        .offset:         8
        .size:           8
        .value_kind:     global_buffer
      - .offset:         16
        .size:           8
        .value_kind:     by_value
      - .offset:         24
        .size:           8
        .value_kind:     by_value
      - .offset:         32
        .size:           8
        .value_kind:     by_value
      - .address_space:  global
        .offset:         40
        .size:           8
        .value_kind:     global_buffer
      - .offset:         48
        .size:           8
        .value_kind:     by_value
      - .offset:         56
        .size:           8
        .value_kind:     by_value
      - .offset:         64
        .size:           8
        .value_kind:     by_value
      - .address_space:  global
        .offset:         72
        .size:           8
        .value_kind:     global_buffer
      - .offset:         80
        .size:           8
        .value_kind:     by_value
      - .address_space:  global
        .offset:         88
        .size:           8
        .value_kind:     global_buffer
      - .offset:         96
        .size:           8
        .value_kind:     by_value
      - .offset:         104
        .size:           4
        .value_kind:     by_value
      - .offset:         112
        .size:           4
        .value_kind:     hidden_block_count_x
      - .offset:         116
        .size:           4
        .value_kind:     hidden_block_count_y
      - .offset:         120
        .size:           4
        .value_kind:     hidden_block_count_z
      - .offset:         124
        .size:           2
        .value_kind:     hidden_group_size_x
      - .offset:         126
        .size:           2
        .value_kind:     hidden_group_size_y
      - .offset:         128
        .size:           2
        .value_kind:     hidden_group_size_z
      - .offset:         130
        .size:           2
        .value_kind:     hidden_remainder_x
      - .offset:         132
        .size:           2
        .value_kind:     hidden_remainder_y
      - .offset:         134
        .size:           2
        .value_kind:     hidden_remainder_z
      - .offset:         152
        .size:           8
        .value_kind:     hidden_global_offset_x
      - .offset:         160
        .size:           8
        .value_kind:     hidden_global_offset_y
      - .offset:         168
        .size:           8
        .value_kind:     hidden_global_offset_z
      - .offset:         176
        .size:           2
        .value_kind:     hidden_grid_dims
    .group_segment_fixed_size: 0
    .kernarg_segment_align: 8
    .kernarg_segment_size: 368
    .language:       OpenCL C
    .language_version:
      - 2
      - 0
    .max_flat_workgroup_size: 512
    .name:           _ZL18rocblas_rot_kernelIiLi512EfPfS0_PKfS2_EviT2_lllT3_lllT4_lT5_li
    .private_segment_fixed_size: 0
    .sgpr_count:     28
    .sgpr_spill_count: 0
    .symbol:         _ZL18rocblas_rot_kernelIiLi512EfPfS0_PKfS2_EviT2_lllT3_lllT4_lT5_li.kd
    .uniform_work_group_size: 1
    .uses_dynamic_stack: false
    .vgpr_count:     8
    .vgpr_spill_count: 0
    .wavefront_size: 64
  - .args:
      - .offset:         0
        .size:           4
        .value_kind:     by_value
      - .address_space:  global
        .offset:         8
        .size:           8
        .value_kind:     global_buffer
      - .offset:         16
        .size:           8
        .value_kind:     by_value
      - .offset:         24
        .size:           8
        .value_kind:     by_value
      - .offset:         32
        .size:           8
        .value_kind:     by_value
      - .address_space:  global
        .offset:         40
        .size:           8
        .value_kind:     global_buffer
      - .offset:         48
        .size:           8
        .value_kind:     by_value
      - .offset:         56
        .size:           8
        .value_kind:     by_value
      - .offset:         64
        .size:           8
        .value_kind:     by_value
      - .offset:         72
        .size:           4
        .value_kind:     by_value
      - .offset:         80
        .size:           8
        .value_kind:     by_value
      - .offset:         88
        .size:           4
        .value_kind:     by_value
      - .offset:         96
        .size:           8
        .value_kind:     by_value
      - .offset:         104
        .size:           4
        .value_kind:     by_value
      - .offset:         112
        .size:           4
        .value_kind:     hidden_block_count_x
      - .offset:         116
        .size:           4
        .value_kind:     hidden_block_count_y
      - .offset:         120
        .size:           4
        .value_kind:     hidden_block_count_z
      - .offset:         124
        .size:           2
        .value_kind:     hidden_group_size_x
      - .offset:         126
        .size:           2
        .value_kind:     hidden_group_size_y
      - .offset:         128
        .size:           2
        .value_kind:     hidden_group_size_z
      - .offset:         130
        .size:           2
        .value_kind:     hidden_remainder_x
      - .offset:         132
        .size:           2
        .value_kind:     hidden_remainder_y
      - .offset:         134
        .size:           2
        .value_kind:     hidden_remainder_z
      - .offset:         152
        .size:           8
        .value_kind:     hidden_global_offset_x
      - .offset:         160
        .size:           8
        .value_kind:     hidden_global_offset_y
      - .offset:         168
        .size:           8
        .value_kind:     hidden_global_offset_z
      - .offset:         176
        .size:           2
        .value_kind:     hidden_grid_dims
    .group_segment_fixed_size: 0
    .kernarg_segment_align: 8
    .kernarg_segment_size: 368
    .language:       OpenCL C
    .language_version:
      - 2
      - 0
    .max_flat_workgroup_size: 512
    .name:           _ZL18rocblas_rot_kernelIiLi512EfPfS0_ffEviT2_lllT3_lllT4_lT5_li
    .private_segment_fixed_size: 0
    .sgpr_count:     28
    .sgpr_spill_count: 0
    .symbol:         _ZL18rocblas_rot_kernelIiLi512EfPfS0_ffEviT2_lllT3_lllT4_lT5_li.kd
    .uniform_work_group_size: 1
    .uses_dynamic_stack: false
    .vgpr_count:     8
    .vgpr_spill_count: 0
    .wavefront_size: 64
  - .args:
      - .offset:         0
        .size:           4
        .value_kind:     by_value
      - .address_space:  global
        .offset:         8
        .size:           8
        .value_kind:     global_buffer
      - .offset:         16
        .size:           8
        .value_kind:     by_value
      - .offset:         24
        .size:           8
        .value_kind:     by_value
      - .offset:         32
        .size:           8
        .value_kind:     by_value
      - .address_space:  global
        .offset:         40
        .size:           8
        .value_kind:     global_buffer
      - .offset:         48
        .size:           8
        .value_kind:     by_value
      - .offset:         56
        .size:           8
        .value_kind:     by_value
      - .offset:         64
        .size:           8
        .value_kind:     by_value
      - .address_space:  global
        .offset:         72
        .size:           8
        .value_kind:     global_buffer
      - .offset:         80
        .size:           8
        .value_kind:     by_value
      - .address_space:  global
        .offset:         88
        .size:           8
        .value_kind:     global_buffer
      - .offset:         96
        .size:           8
        .value_kind:     by_value
      - .offset:         104
        .size:           4
        .value_kind:     by_value
      - .offset:         112
        .size:           4
        .value_kind:     hidden_block_count_x
      - .offset:         116
        .size:           4
        .value_kind:     hidden_block_count_y
      - .offset:         120
        .size:           4
        .value_kind:     hidden_block_count_z
      - .offset:         124
        .size:           2
        .value_kind:     hidden_group_size_x
      - .offset:         126
        .size:           2
        .value_kind:     hidden_group_size_y
      - .offset:         128
        .size:           2
        .value_kind:     hidden_group_size_z
      - .offset:         130
        .size:           2
        .value_kind:     hidden_remainder_x
      - .offset:         132
        .size:           2
        .value_kind:     hidden_remainder_y
      - .offset:         134
        .size:           2
        .value_kind:     hidden_remainder_z
      - .offset:         152
        .size:           8
        .value_kind:     hidden_global_offset_x
      - .offset:         160
        .size:           8
        .value_kind:     hidden_global_offset_y
      - .offset:         168
        .size:           8
        .value_kind:     hidden_global_offset_z
      - .offset:         176
        .size:           2
        .value_kind:     hidden_grid_dims
    .group_segment_fixed_size: 0
    .kernarg_segment_align: 8
    .kernarg_segment_size: 368
    .language:       OpenCL C
    .language_version:
      - 2
      - 0
    .max_flat_workgroup_size: 512
    .name:           _ZL18rocblas_rot_kernelIiLi512EdPdS0_PKdS2_EviT2_lllT3_lllT4_lT5_li
    .private_segment_fixed_size: 0
    .sgpr_count:     28
    .sgpr_spill_count: 0
    .symbol:         _ZL18rocblas_rot_kernelIiLi512EdPdS0_PKdS2_EviT2_lllT3_lllT4_lT5_li.kd
    .uniform_work_group_size: 1
    .uses_dynamic_stack: false
    .vgpr_count:     13
    .vgpr_spill_count: 0
    .wavefront_size: 64
  - .args:
      - .offset:         0
        .size:           4
        .value_kind:     by_value
      - .address_space:  global
        .offset:         8
        .size:           8
        .value_kind:     global_buffer
      - .offset:         16
        .size:           8
        .value_kind:     by_value
      - .offset:         24
        .size:           8
        .value_kind:     by_value
      - .offset:         32
        .size:           8
        .value_kind:     by_value
      - .address_space:  global
        .offset:         40
        .size:           8
        .value_kind:     global_buffer
      - .offset:         48
        .size:           8
        .value_kind:     by_value
      - .offset:         56
        .size:           8
        .value_kind:     by_value
      - .offset:         64
        .size:           8
        .value_kind:     by_value
      - .offset:         72
        .size:           8
        .value_kind:     by_value
      - .offset:         80
        .size:           8
        .value_kind:     by_value
      - .offset:         88
        .size:           8
        .value_kind:     by_value
      - .offset:         96
        .size:           8
        .value_kind:     by_value
      - .offset:         104
        .size:           4
        .value_kind:     by_value
      - .offset:         112
        .size:           4
        .value_kind:     hidden_block_count_x
      - .offset:         116
        .size:           4
        .value_kind:     hidden_block_count_y
      - .offset:         120
        .size:           4
        .value_kind:     hidden_block_count_z
      - .offset:         124
        .size:           2
        .value_kind:     hidden_group_size_x
      - .offset:         126
        .size:           2
        .value_kind:     hidden_group_size_y
      - .offset:         128
        .size:           2
        .value_kind:     hidden_group_size_z
      - .offset:         130
        .size:           2
        .value_kind:     hidden_remainder_x
      - .offset:         132
        .size:           2
        .value_kind:     hidden_remainder_y
      - .offset:         134
        .size:           2
        .value_kind:     hidden_remainder_z
      - .offset:         152
        .size:           8
        .value_kind:     hidden_global_offset_x
      - .offset:         160
        .size:           8
        .value_kind:     hidden_global_offset_y
      - .offset:         168
        .size:           8
        .value_kind:     hidden_global_offset_z
      - .offset:         176
        .size:           2
        .value_kind:     hidden_grid_dims
    .group_segment_fixed_size: 0
    .kernarg_segment_align: 8
    .kernarg_segment_size: 368
    .language:       OpenCL C
    .language_version:
      - 2
      - 0
    .max_flat_workgroup_size: 512
    .name:           _ZL18rocblas_rot_kernelIiLi512EdPdS0_ddEviT2_lllT3_lllT4_lT5_li
    .private_segment_fixed_size: 0
    .sgpr_count:     28
    .sgpr_spill_count: 0
    .symbol:         _ZL18rocblas_rot_kernelIiLi512EdPdS0_ddEviT2_lllT3_lllT4_lT5_li.kd
    .uniform_work_group_size: 1
    .uses_dynamic_stack: false
    .vgpr_count:     13
    .vgpr_spill_count: 0
    .wavefront_size: 64
  - .args:
      - .offset:         0
        .size:           4
        .value_kind:     by_value
      - .address_space:  global
        .offset:         8
        .size:           8
        .value_kind:     global_buffer
      - .offset:         16
        .size:           8
        .value_kind:     by_value
      - .offset:         24
        .size:           8
        .value_kind:     by_value
      - .offset:         32
        .size:           8
        .value_kind:     by_value
      - .address_space:  global
        .offset:         40
        .size:           8
        .value_kind:     global_buffer
      - .offset:         48
        .size:           8
        .value_kind:     by_value
      - .offset:         56
        .size:           8
        .value_kind:     by_value
      - .offset:         64
        .size:           8
        .value_kind:     by_value
      - .address_space:  global
        .offset:         72
        .size:           8
        .value_kind:     global_buffer
      - .offset:         80
        .size:           8
        .value_kind:     by_value
      - .address_space:  global
        .offset:         88
        .size:           8
        .value_kind:     global_buffer
      - .offset:         96
        .size:           8
        .value_kind:     by_value
      - .offset:         104
        .size:           4
        .value_kind:     by_value
      - .offset:         112
        .size:           4
        .value_kind:     hidden_block_count_x
      - .offset:         116
        .size:           4
        .value_kind:     hidden_block_count_y
      - .offset:         120
        .size:           4
        .value_kind:     hidden_block_count_z
      - .offset:         124
        .size:           2
        .value_kind:     hidden_group_size_x
      - .offset:         126
        .size:           2
        .value_kind:     hidden_group_size_y
      - .offset:         128
        .size:           2
        .value_kind:     hidden_group_size_z
      - .offset:         130
        .size:           2
        .value_kind:     hidden_remainder_x
      - .offset:         132
        .size:           2
        .value_kind:     hidden_remainder_y
      - .offset:         134
        .size:           2
        .value_kind:     hidden_remainder_z
      - .offset:         152
        .size:           8
        .value_kind:     hidden_global_offset_x
      - .offset:         160
        .size:           8
        .value_kind:     hidden_global_offset_y
      - .offset:         168
        .size:           8
        .value_kind:     hidden_global_offset_z
      - .offset:         176
        .size:           2
        .value_kind:     hidden_grid_dims
    .group_segment_fixed_size: 0
    .kernarg_segment_align: 8
    .kernarg_segment_size: 368
    .language:       OpenCL C
    .language_version:
      - 2
      - 0
    .max_flat_workgroup_size: 512
    .name:           _ZL18rocblas_rot_kernelIiLi512EfP16rocblas_bfloat16S1_PKS0_S3_EviT2_lllT3_lllT4_lT5_li
    .private_segment_fixed_size: 0
    .sgpr_count:     36
    .sgpr_spill_count: 0
    .symbol:         _ZL18rocblas_rot_kernelIiLi512EfP16rocblas_bfloat16S1_PKS0_S3_EviT2_lllT3_lllT4_lT5_li.kd
    .uniform_work_group_size: 1
    .uses_dynamic_stack: false
    .vgpr_count:     12
    .vgpr_spill_count: 0
    .wavefront_size: 64
  - .args:
      - .offset:         0
        .size:           4
        .value_kind:     by_value
      - .address_space:  global
        .offset:         8
        .size:           8
        .value_kind:     global_buffer
      - .offset:         16
        .size:           8
        .value_kind:     by_value
      - .offset:         24
        .size:           8
        .value_kind:     by_value
      - .offset:         32
        .size:           8
        .value_kind:     by_value
      - .address_space:  global
        .offset:         40
        .size:           8
        .value_kind:     global_buffer
      - .offset:         48
        .size:           8
        .value_kind:     by_value
      - .offset:         56
        .size:           8
        .value_kind:     by_value
      - .offset:         64
        .size:           8
        .value_kind:     by_value
      - .offset:         72
        .size:           2
        .value_kind:     by_value
      - .offset:         80
        .size:           8
        .value_kind:     by_value
      - .offset:         88
        .size:           2
        .value_kind:     by_value
      - .offset:         96
        .size:           8
        .value_kind:     by_value
      - .offset:         104
        .size:           4
        .value_kind:     by_value
      - .offset:         112
        .size:           4
        .value_kind:     hidden_block_count_x
      - .offset:         116
        .size:           4
        .value_kind:     hidden_block_count_y
      - .offset:         120
        .size:           4
        .value_kind:     hidden_block_count_z
      - .offset:         124
        .size:           2
        .value_kind:     hidden_group_size_x
      - .offset:         126
        .size:           2
        .value_kind:     hidden_group_size_y
      - .offset:         128
        .size:           2
        .value_kind:     hidden_group_size_z
      - .offset:         130
        .size:           2
        .value_kind:     hidden_remainder_x
      - .offset:         132
        .size:           2
        .value_kind:     hidden_remainder_y
      - .offset:         134
        .size:           2
        .value_kind:     hidden_remainder_z
      - .offset:         152
        .size:           8
        .value_kind:     hidden_global_offset_x
      - .offset:         160
        .size:           8
        .value_kind:     hidden_global_offset_y
      - .offset:         168
        .size:           8
        .value_kind:     hidden_global_offset_z
      - .offset:         176
        .size:           2
        .value_kind:     hidden_grid_dims
    .group_segment_fixed_size: 0
    .kernarg_segment_align: 8
    .kernarg_segment_size: 368
    .language:       OpenCL C
    .language_version:
      - 2
      - 0
    .max_flat_workgroup_size: 512
    .name:           _ZL18rocblas_rot_kernelIiLi512EfP16rocblas_bfloat16S1_S0_S0_EviT2_lllT3_lllT4_lT5_li
    .private_segment_fixed_size: 0
    .sgpr_count:     28
    .sgpr_spill_count: 0
    .symbol:         _ZL18rocblas_rot_kernelIiLi512EfP16rocblas_bfloat16S1_S0_S0_EviT2_lllT3_lllT4_lT5_li.kd
    .uniform_work_group_size: 1
    .uses_dynamic_stack: false
    .vgpr_count:     10
    .vgpr_spill_count: 0
    .wavefront_size: 64
  - .args:
      - .offset:         0
        .size:           4
        .value_kind:     by_value
      - .address_space:  global
        .offset:         8
        .size:           8
        .value_kind:     global_buffer
      - .offset:         16
        .size:           8
        .value_kind:     by_value
      - .offset:         24
        .size:           8
        .value_kind:     by_value
      - .offset:         32
        .size:           8
        .value_kind:     by_value
      - .address_space:  global
        .offset:         40
        .size:           8
        .value_kind:     global_buffer
      - .offset:         48
        .size:           8
        .value_kind:     by_value
      - .offset:         56
        .size:           8
        .value_kind:     by_value
      - .offset:         64
        .size:           8
        .value_kind:     by_value
      - .address_space:  global
        .offset:         72
        .size:           8
        .value_kind:     global_buffer
      - .offset:         80
        .size:           8
        .value_kind:     by_value
      - .address_space:  global
        .offset:         88
        .size:           8
        .value_kind:     global_buffer
      - .offset:         96
        .size:           8
        .value_kind:     by_value
      - .offset:         104
        .size:           4
        .value_kind:     by_value
      - .offset:         112
        .size:           4
        .value_kind:     hidden_block_count_x
      - .offset:         116
        .size:           4
        .value_kind:     hidden_block_count_y
      - .offset:         120
        .size:           4
        .value_kind:     hidden_block_count_z
      - .offset:         124
        .size:           2
        .value_kind:     hidden_group_size_x
      - .offset:         126
        .size:           2
        .value_kind:     hidden_group_size_y
      - .offset:         128
        .size:           2
        .value_kind:     hidden_group_size_z
      - .offset:         130
        .size:           2
        .value_kind:     hidden_remainder_x
      - .offset:         132
        .size:           2
        .value_kind:     hidden_remainder_y
      - .offset:         134
        .size:           2
        .value_kind:     hidden_remainder_z
      - .offset:         152
        .size:           8
        .value_kind:     hidden_global_offset_x
      - .offset:         160
        .size:           8
        .value_kind:     hidden_global_offset_y
      - .offset:         168
        .size:           8
        .value_kind:     hidden_global_offset_z
      - .offset:         176
        .size:           2
        .value_kind:     hidden_grid_dims
    .group_segment_fixed_size: 0
    .kernarg_segment_align: 8
    .kernarg_segment_size: 368
    .language:       OpenCL C
    .language_version:
      - 2
      - 0
    .max_flat_workgroup_size: 512
    .name:           _ZL18rocblas_rot_kernelIiLi512EfPDF16_S0_PKDF16_S2_EviT2_lllT3_lllT4_lT5_li
    .private_segment_fixed_size: 0
    .sgpr_count:     36
    .sgpr_spill_count: 0
    .symbol:         _ZL18rocblas_rot_kernelIiLi512EfPDF16_S0_PKDF16_S2_EviT2_lllT3_lllT4_lT5_li.kd
    .uniform_work_group_size: 1
    .uses_dynamic_stack: false
    .vgpr_count:     10
    .vgpr_spill_count: 0
    .wavefront_size: 64
  - .args:
      - .offset:         0
        .size:           4
        .value_kind:     by_value
      - .address_space:  global
        .offset:         8
        .size:           8
        .value_kind:     global_buffer
      - .offset:         16
        .size:           8
        .value_kind:     by_value
      - .offset:         24
        .size:           8
        .value_kind:     by_value
      - .offset:         32
        .size:           8
        .value_kind:     by_value
      - .address_space:  global
        .offset:         40
        .size:           8
        .value_kind:     global_buffer
      - .offset:         48
        .size:           8
        .value_kind:     by_value
      - .offset:         56
        .size:           8
        .value_kind:     by_value
      - .offset:         64
        .size:           8
        .value_kind:     by_value
      - .offset:         72
        .size:           2
        .value_kind:     by_value
      - .offset:         80
        .size:           8
        .value_kind:     by_value
      - .offset:         88
        .size:           2
        .value_kind:     by_value
      - .offset:         96
        .size:           8
        .value_kind:     by_value
      - .offset:         104
        .size:           4
        .value_kind:     by_value
      - .offset:         112
        .size:           4
        .value_kind:     hidden_block_count_x
      - .offset:         116
        .size:           4
        .value_kind:     hidden_block_count_y
      - .offset:         120
        .size:           4
        .value_kind:     hidden_block_count_z
      - .offset:         124
        .size:           2
        .value_kind:     hidden_group_size_x
      - .offset:         126
        .size:           2
        .value_kind:     hidden_group_size_y
      - .offset:         128
        .size:           2
        .value_kind:     hidden_group_size_z
      - .offset:         130
        .size:           2
        .value_kind:     hidden_remainder_x
      - .offset:         132
        .size:           2
        .value_kind:     hidden_remainder_y
      - .offset:         134
        .size:           2
        .value_kind:     hidden_remainder_z
      - .offset:         152
        .size:           8
        .value_kind:     hidden_global_offset_x
      - .offset:         160
        .size:           8
        .value_kind:     hidden_global_offset_y
      - .offset:         168
        .size:           8
        .value_kind:     hidden_global_offset_z
      - .offset:         176
        .size:           2
        .value_kind:     hidden_grid_dims
    .group_segment_fixed_size: 0
    .kernarg_segment_align: 8
    .kernarg_segment_size: 368
    .language:       OpenCL C
    .language_version:
      - 2
      - 0
    .max_flat_workgroup_size: 512
    .name:           _ZL18rocblas_rot_kernelIiLi512EfPDF16_S0_DF16_DF16_EviT2_lllT3_lllT4_lT5_li
    .private_segment_fixed_size: 0
    .sgpr_count:     28
    .sgpr_spill_count: 0
    .symbol:         _ZL18rocblas_rot_kernelIiLi512EfPDF16_S0_DF16_DF16_EviT2_lllT3_lllT4_lT5_li.kd
    .uniform_work_group_size: 1
    .uses_dynamic_stack: false
    .vgpr_count:     8
    .vgpr_spill_count: 0
    .wavefront_size: 64
  - .args:
      - .offset:         0
        .size:           4
        .value_kind:     by_value
      - .address_space:  global
        .offset:         8
        .size:           8
        .value_kind:     global_buffer
      - .offset:         16
        .size:           8
        .value_kind:     by_value
      - .offset:         24
        .size:           8
        .value_kind:     by_value
      - .offset:         32
        .size:           8
        .value_kind:     by_value
      - .address_space:  global
        .offset:         40
        .size:           8
        .value_kind:     global_buffer
      - .offset:         48
        .size:           8
        .value_kind:     by_value
      - .offset:         56
        .size:           8
        .value_kind:     by_value
      - .offset:         64
        .size:           8
        .value_kind:     by_value
      - .address_space:  global
        .offset:         72
        .size:           8
        .value_kind:     global_buffer
      - .offset:         80
        .size:           8
        .value_kind:     by_value
      - .address_space:  global
        .offset:         88
        .size:           8
        .value_kind:     global_buffer
      - .offset:         96
        .size:           8
        .value_kind:     by_value
      - .offset:         104
        .size:           4
        .value_kind:     by_value
      - .offset:         112
        .size:           4
        .value_kind:     hidden_block_count_x
      - .offset:         116
        .size:           4
        .value_kind:     hidden_block_count_y
      - .offset:         120
        .size:           4
        .value_kind:     hidden_block_count_z
      - .offset:         124
        .size:           2
        .value_kind:     hidden_group_size_x
      - .offset:         126
        .size:           2
        .value_kind:     hidden_group_size_y
      - .offset:         128
        .size:           2
        .value_kind:     hidden_group_size_z
      - .offset:         130
        .size:           2
        .value_kind:     hidden_remainder_x
      - .offset:         132
        .size:           2
        .value_kind:     hidden_remainder_y
      - .offset:         134
        .size:           2
        .value_kind:     hidden_remainder_z
      - .offset:         152
        .size:           8
        .value_kind:     hidden_global_offset_x
      - .offset:         160
        .size:           8
        .value_kind:     hidden_global_offset_y
      - .offset:         168
        .size:           8
        .value_kind:     hidden_global_offset_z
      - .offset:         176
        .size:           2
        .value_kind:     hidden_grid_dims
    .group_segment_fixed_size: 0
    .kernarg_segment_align: 8
    .kernarg_segment_size: 368
    .language:       OpenCL C
    .language_version:
      - 2
      - 0
    .max_flat_workgroup_size: 512
    .name:           _ZL18rocblas_rot_kernelIiLi512E19rocblas_complex_numIfEPS1_S2_PKfS4_EviT2_lllT3_lllT4_lT5_li
    .private_segment_fixed_size: 0
    .sgpr_count:     28
    .sgpr_spill_count: 0
    .symbol:         _ZL18rocblas_rot_kernelIiLi512E19rocblas_complex_numIfEPS1_S2_PKfS4_EviT2_lllT3_lllT4_lT5_li.kd
    .uniform_work_group_size: 1
    .uses_dynamic_stack: false
    .vgpr_count:     10
    .vgpr_spill_count: 0
    .wavefront_size: 64
  - .args:
      - .offset:         0
        .size:           4
        .value_kind:     by_value
      - .address_space:  global
        .offset:         8
        .size:           8
        .value_kind:     global_buffer
      - .offset:         16
        .size:           8
        .value_kind:     by_value
      - .offset:         24
        .size:           8
        .value_kind:     by_value
      - .offset:         32
        .size:           8
        .value_kind:     by_value
      - .address_space:  global
        .offset:         40
        .size:           8
        .value_kind:     global_buffer
      - .offset:         48
        .size:           8
        .value_kind:     by_value
      - .offset:         56
        .size:           8
        .value_kind:     by_value
      - .offset:         64
        .size:           8
        .value_kind:     by_value
      - .offset:         72
        .size:           4
        .value_kind:     by_value
      - .offset:         80
        .size:           8
        .value_kind:     by_value
      - .offset:         88
        .size:           4
        .value_kind:     by_value
      - .offset:         96
        .size:           8
        .value_kind:     by_value
      - .offset:         104
        .size:           4
        .value_kind:     by_value
      - .offset:         112
        .size:           4
        .value_kind:     hidden_block_count_x
      - .offset:         116
        .size:           4
        .value_kind:     hidden_block_count_y
      - .offset:         120
        .size:           4
        .value_kind:     hidden_block_count_z
      - .offset:         124
        .size:           2
        .value_kind:     hidden_group_size_x
      - .offset:         126
        .size:           2
        .value_kind:     hidden_group_size_y
      - .offset:         128
        .size:           2
        .value_kind:     hidden_group_size_z
      - .offset:         130
        .size:           2
        .value_kind:     hidden_remainder_x
      - .offset:         132
        .size:           2
        .value_kind:     hidden_remainder_y
      - .offset:         134
        .size:           2
        .value_kind:     hidden_remainder_z
      - .offset:         152
        .size:           8
        .value_kind:     hidden_global_offset_x
      - .offset:         160
        .size:           8
        .value_kind:     hidden_global_offset_y
      - .offset:         168
        .size:           8
        .value_kind:     hidden_global_offset_z
      - .offset:         176
        .size:           2
        .value_kind:     hidden_grid_dims
    .group_segment_fixed_size: 0
    .kernarg_segment_align: 8
    .kernarg_segment_size: 368
    .language:       OpenCL C
    .language_version:
      - 2
      - 0
    .max_flat_workgroup_size: 512
    .name:           _ZL18rocblas_rot_kernelIiLi512E19rocblas_complex_numIfEPS1_S2_ffEviT2_lllT3_lllT4_lT5_li
    .private_segment_fixed_size: 0
    .sgpr_count:     28
    .sgpr_spill_count: 0
    .symbol:         _ZL18rocblas_rot_kernelIiLi512E19rocblas_complex_numIfEPS1_S2_ffEviT2_lllT3_lllT4_lT5_li.kd
    .uniform_work_group_size: 1
    .uses_dynamic_stack: false
    .vgpr_count:     10
    .vgpr_spill_count: 0
    .wavefront_size: 64
  - .args:
      - .offset:         0
        .size:           4
        .value_kind:     by_value
      - .address_space:  global
        .offset:         8
        .size:           8
        .value_kind:     global_buffer
      - .offset:         16
        .size:           8
        .value_kind:     by_value
      - .offset:         24
        .size:           8
        .value_kind:     by_value
      - .offset:         32
        .size:           8
        .value_kind:     by_value
      - .address_space:  global
        .offset:         40
        .size:           8
        .value_kind:     global_buffer
      - .offset:         48
        .size:           8
        .value_kind:     by_value
      - .offset:         56
        .size:           8
        .value_kind:     by_value
      - .offset:         64
        .size:           8
        .value_kind:     by_value
      - .address_space:  global
        .offset:         72
        .size:           8
        .value_kind:     global_buffer
      - .offset:         80
        .size:           8
        .value_kind:     by_value
      - .address_space:  global
        .offset:         88
        .size:           8
        .value_kind:     global_buffer
      - .offset:         96
        .size:           8
        .value_kind:     by_value
      - .offset:         104
        .size:           4
        .value_kind:     by_value
      - .offset:         112
        .size:           4
        .value_kind:     hidden_block_count_x
      - .offset:         116
        .size:           4
        .value_kind:     hidden_block_count_y
      - .offset:         120
        .size:           4
        .value_kind:     hidden_block_count_z
      - .offset:         124
        .size:           2
        .value_kind:     hidden_group_size_x
      - .offset:         126
        .size:           2
        .value_kind:     hidden_group_size_y
      - .offset:         128
        .size:           2
        .value_kind:     hidden_group_size_z
      - .offset:         130
        .size:           2
        .value_kind:     hidden_remainder_x
      - .offset:         132
        .size:           2
        .value_kind:     hidden_remainder_y
      - .offset:         134
        .size:           2
        .value_kind:     hidden_remainder_z
      - .offset:         152
        .size:           8
        .value_kind:     hidden_global_offset_x
      - .offset:         160
        .size:           8
        .value_kind:     hidden_global_offset_y
      - .offset:         168
        .size:           8
        .value_kind:     hidden_global_offset_z
      - .offset:         176
        .size:           2
        .value_kind:     hidden_grid_dims
    .group_segment_fixed_size: 0
    .kernarg_segment_align: 8
    .kernarg_segment_size: 368
    .language:       OpenCL C
    .language_version:
      - 2
      - 0
    .max_flat_workgroup_size: 512
    .name:           _ZL18rocblas_rot_kernelIiLi512E19rocblas_complex_numIfEPS1_S2_PKfPKS1_EviT2_lllT3_lllT4_lT5_li
    .private_segment_fixed_size: 0
    .sgpr_count:     28
    .sgpr_spill_count: 0
    .symbol:         _ZL18rocblas_rot_kernelIiLi512E19rocblas_complex_numIfEPS1_S2_PKfPKS1_EviT2_lllT3_lllT4_lT5_li.kd
    .uniform_work_group_size: 1
    .uses_dynamic_stack: false
    .vgpr_count:     12
    .vgpr_spill_count: 0
    .wavefront_size: 64
  - .args:
      - .offset:         0
        .size:           4
        .value_kind:     by_value
      - .address_space:  global
        .offset:         8
        .size:           8
        .value_kind:     global_buffer
      - .offset:         16
        .size:           8
        .value_kind:     by_value
      - .offset:         24
        .size:           8
        .value_kind:     by_value
      - .offset:         32
        .size:           8
        .value_kind:     by_value
      - .address_space:  global
        .offset:         40
        .size:           8
        .value_kind:     global_buffer
      - .offset:         48
        .size:           8
        .value_kind:     by_value
      - .offset:         56
        .size:           8
        .value_kind:     by_value
      - .offset:         64
        .size:           8
        .value_kind:     by_value
      - .offset:         72
        .size:           4
        .value_kind:     by_value
      - .offset:         80
        .size:           8
        .value_kind:     by_value
      - .offset:         88
        .size:           8
        .value_kind:     by_value
      - .offset:         96
        .size:           8
        .value_kind:     by_value
      - .offset:         104
        .size:           4
        .value_kind:     by_value
      - .offset:         112
        .size:           4
        .value_kind:     hidden_block_count_x
      - .offset:         116
        .size:           4
        .value_kind:     hidden_block_count_y
      - .offset:         120
        .size:           4
        .value_kind:     hidden_block_count_z
      - .offset:         124
        .size:           2
        .value_kind:     hidden_group_size_x
      - .offset:         126
        .size:           2
        .value_kind:     hidden_group_size_y
      - .offset:         128
        .size:           2
        .value_kind:     hidden_group_size_z
      - .offset:         130
        .size:           2
        .value_kind:     hidden_remainder_x
      - .offset:         132
        .size:           2
        .value_kind:     hidden_remainder_y
      - .offset:         134
        .size:           2
        .value_kind:     hidden_remainder_z
      - .offset:         152
        .size:           8
        .value_kind:     hidden_global_offset_x
      - .offset:         160
        .size:           8
        .value_kind:     hidden_global_offset_y
      - .offset:         168
        .size:           8
        .value_kind:     hidden_global_offset_z
      - .offset:         176
        .size:           2
        .value_kind:     hidden_grid_dims
    .group_segment_fixed_size: 0
    .kernarg_segment_align: 8
    .kernarg_segment_size: 368
    .language:       OpenCL C
    .language_version:
      - 2
      - 0
    .max_flat_workgroup_size: 512
    .name:           _ZL18rocblas_rot_kernelIiLi512E19rocblas_complex_numIfEPS1_S2_fS1_EviT2_lllT3_lllT4_lT5_li
    .private_segment_fixed_size: 0
    .sgpr_count:     28
    .sgpr_spill_count: 0
    .symbol:         _ZL18rocblas_rot_kernelIiLi512E19rocblas_complex_numIfEPS1_S2_fS1_EviT2_lllT3_lllT4_lT5_li.kd
    .uniform_work_group_size: 1
    .uses_dynamic_stack: false
    .vgpr_count:     12
    .vgpr_spill_count: 0
    .wavefront_size: 64
  - .args:
      - .offset:         0
        .size:           4
        .value_kind:     by_value
      - .address_space:  global
        .offset:         8
        .size:           8
        .value_kind:     global_buffer
      - .offset:         16
        .size:           8
        .value_kind:     by_value
      - .offset:         24
        .size:           8
        .value_kind:     by_value
      - .offset:         32
        .size:           8
        .value_kind:     by_value
      - .address_space:  global
        .offset:         40
        .size:           8
        .value_kind:     global_buffer
      - .offset:         48
        .size:           8
        .value_kind:     by_value
      - .offset:         56
        .size:           8
        .value_kind:     by_value
      - .offset:         64
        .size:           8
        .value_kind:     by_value
      - .address_space:  global
        .offset:         72
        .size:           8
        .value_kind:     global_buffer
      - .offset:         80
        .size:           8
        .value_kind:     by_value
      - .address_space:  global
        .offset:         88
        .size:           8
        .value_kind:     global_buffer
      - .offset:         96
        .size:           8
        .value_kind:     by_value
      - .offset:         104
        .size:           4
        .value_kind:     by_value
      - .offset:         112
        .size:           4
        .value_kind:     hidden_block_count_x
      - .offset:         116
        .size:           4
        .value_kind:     hidden_block_count_y
      - .offset:         120
        .size:           4
        .value_kind:     hidden_block_count_z
      - .offset:         124
        .size:           2
        .value_kind:     hidden_group_size_x
      - .offset:         126
        .size:           2
        .value_kind:     hidden_group_size_y
      - .offset:         128
        .size:           2
        .value_kind:     hidden_group_size_z
      - .offset:         130
        .size:           2
        .value_kind:     hidden_remainder_x
      - .offset:         132
        .size:           2
        .value_kind:     hidden_remainder_y
      - .offset:         134
        .size:           2
        .value_kind:     hidden_remainder_z
      - .offset:         152
        .size:           8
        .value_kind:     hidden_global_offset_x
      - .offset:         160
        .size:           8
        .value_kind:     hidden_global_offset_y
      - .offset:         168
        .size:           8
        .value_kind:     hidden_global_offset_z
      - .offset:         176
        .size:           2
        .value_kind:     hidden_grid_dims
    .group_segment_fixed_size: 0
    .kernarg_segment_align: 8
    .kernarg_segment_size: 368
    .language:       OpenCL C
    .language_version:
      - 2
      - 0
    .max_flat_workgroup_size: 512
    .name:           _ZL18rocblas_rot_kernelIiLi512E19rocblas_complex_numIfEPS1_S2_PKS1_S4_EviT2_lllT3_lllT4_lT5_li
    .private_segment_fixed_size: 0
    .sgpr_count:     28
    .sgpr_spill_count: 0
    .symbol:         _ZL18rocblas_rot_kernelIiLi512E19rocblas_complex_numIfEPS1_S2_PKS1_S4_EviT2_lllT3_lllT4_lT5_li.kd
    .uniform_work_group_size: 1
    .uses_dynamic_stack: false
    .vgpr_count:     12
    .vgpr_spill_count: 0
    .wavefront_size: 64
  - .args:
      - .offset:         0
        .size:           4
        .value_kind:     by_value
      - .address_space:  global
        .offset:         8
        .size:           8
        .value_kind:     global_buffer
      - .offset:         16
        .size:           8
        .value_kind:     by_value
      - .offset:         24
        .size:           8
        .value_kind:     by_value
      - .offset:         32
        .size:           8
        .value_kind:     by_value
      - .address_space:  global
        .offset:         40
        .size:           8
        .value_kind:     global_buffer
      - .offset:         48
        .size:           8
        .value_kind:     by_value
      - .offset:         56
        .size:           8
        .value_kind:     by_value
      - .offset:         64
        .size:           8
        .value_kind:     by_value
      - .offset:         72
        .size:           8
        .value_kind:     by_value
      - .offset:         80
        .size:           8
        .value_kind:     by_value
      - .offset:         88
        .size:           8
        .value_kind:     by_value
      - .offset:         96
        .size:           8
        .value_kind:     by_value
      - .offset:         104
        .size:           4
        .value_kind:     by_value
      - .offset:         112
        .size:           4
        .value_kind:     hidden_block_count_x
      - .offset:         116
        .size:           4
        .value_kind:     hidden_block_count_y
      - .offset:         120
        .size:           4
        .value_kind:     hidden_block_count_z
      - .offset:         124
        .size:           2
        .value_kind:     hidden_group_size_x
      - .offset:         126
        .size:           2
        .value_kind:     hidden_group_size_y
      - .offset:         128
        .size:           2
        .value_kind:     hidden_group_size_z
      - .offset:         130
        .size:           2
        .value_kind:     hidden_remainder_x
      - .offset:         132
        .size:           2
        .value_kind:     hidden_remainder_y
      - .offset:         134
        .size:           2
        .value_kind:     hidden_remainder_z
      - .offset:         152
        .size:           8
        .value_kind:     hidden_global_offset_x
      - .offset:         160
        .size:           8
        .value_kind:     hidden_global_offset_y
      - .offset:         168
        .size:           8
        .value_kind:     hidden_global_offset_z
      - .offset:         176
        .size:           2
        .value_kind:     hidden_grid_dims
    .group_segment_fixed_size: 0
    .kernarg_segment_align: 8
    .kernarg_segment_size: 368
    .language:       OpenCL C
    .language_version:
      - 2
      - 0
    .max_flat_workgroup_size: 512
    .name:           _ZL18rocblas_rot_kernelIiLi512E19rocblas_complex_numIfEPS1_S2_S1_S1_EviT2_lllT3_lllT4_lT5_li
    .private_segment_fixed_size: 0
    .sgpr_count:     28
    .sgpr_spill_count: 0
    .symbol:         _ZL18rocblas_rot_kernelIiLi512E19rocblas_complex_numIfEPS1_S2_S1_S1_EviT2_lllT3_lllT4_lT5_li.kd
    .uniform_work_group_size: 1
    .uses_dynamic_stack: false
    .vgpr_count:     12
    .vgpr_spill_count: 0
    .wavefront_size: 64
  - .args:
      - .offset:         0
        .size:           4
        .value_kind:     by_value
      - .address_space:  global
        .offset:         8
        .size:           8
        .value_kind:     global_buffer
      - .offset:         16
        .size:           8
        .value_kind:     by_value
      - .offset:         24
        .size:           8
        .value_kind:     by_value
      - .offset:         32
        .size:           8
        .value_kind:     by_value
      - .address_space:  global
        .offset:         40
        .size:           8
        .value_kind:     global_buffer
      - .offset:         48
        .size:           8
        .value_kind:     by_value
      - .offset:         56
        .size:           8
        .value_kind:     by_value
      - .offset:         64
        .size:           8
        .value_kind:     by_value
      - .address_space:  global
        .offset:         72
        .size:           8
        .value_kind:     global_buffer
      - .offset:         80
        .size:           8
        .value_kind:     by_value
      - .address_space:  global
        .offset:         88
        .size:           8
        .value_kind:     global_buffer
      - .offset:         96
        .size:           8
        .value_kind:     by_value
      - .offset:         104
        .size:           4
        .value_kind:     by_value
      - .offset:         112
        .size:           4
        .value_kind:     hidden_block_count_x
      - .offset:         116
        .size:           4
        .value_kind:     hidden_block_count_y
      - .offset:         120
        .size:           4
        .value_kind:     hidden_block_count_z
      - .offset:         124
        .size:           2
        .value_kind:     hidden_group_size_x
      - .offset:         126
        .size:           2
        .value_kind:     hidden_group_size_y
      - .offset:         128
        .size:           2
        .value_kind:     hidden_group_size_z
      - .offset:         130
        .size:           2
        .value_kind:     hidden_remainder_x
      - .offset:         132
        .size:           2
        .value_kind:     hidden_remainder_y
      - .offset:         134
        .size:           2
        .value_kind:     hidden_remainder_z
      - .offset:         152
        .size:           8
        .value_kind:     hidden_global_offset_x
      - .offset:         160
        .size:           8
        .value_kind:     hidden_global_offset_y
      - .offset:         168
        .size:           8
        .value_kind:     hidden_global_offset_z
      - .offset:         176
        .size:           2
        .value_kind:     hidden_grid_dims
    .group_segment_fixed_size: 0
    .kernarg_segment_align: 8
    .kernarg_segment_size: 368
    .language:       OpenCL C
    .language_version:
      - 2
      - 0
    .max_flat_workgroup_size: 512
    .name:           _ZL18rocblas_rot_kernelIiLi512E19rocblas_complex_numIdEPS1_S2_PKdS4_EviT2_lllT3_lllT4_lT5_li
    .private_segment_fixed_size: 0
    .sgpr_count:     28
    .sgpr_spill_count: 0
    .symbol:         _ZL18rocblas_rot_kernelIiLi512E19rocblas_complex_numIdEPS1_S2_PKdS4_EviT2_lllT3_lllT4_lT5_li.kd
    .uniform_work_group_size: 1
    .uses_dynamic_stack: false
    .vgpr_count:     18
    .vgpr_spill_count: 0
    .wavefront_size: 64
  - .args:
      - .offset:         0
        .size:           4
        .value_kind:     by_value
      - .address_space:  global
        .offset:         8
        .size:           8
        .value_kind:     global_buffer
      - .offset:         16
        .size:           8
        .value_kind:     by_value
      - .offset:         24
        .size:           8
        .value_kind:     by_value
      - .offset:         32
        .size:           8
        .value_kind:     by_value
      - .address_space:  global
        .offset:         40
        .size:           8
        .value_kind:     global_buffer
      - .offset:         48
        .size:           8
        .value_kind:     by_value
      - .offset:         56
        .size:           8
        .value_kind:     by_value
      - .offset:         64
        .size:           8
        .value_kind:     by_value
      - .offset:         72
        .size:           8
        .value_kind:     by_value
      - .offset:         80
        .size:           8
        .value_kind:     by_value
      - .offset:         88
        .size:           8
        .value_kind:     by_value
      - .offset:         96
        .size:           8
        .value_kind:     by_value
      - .offset:         104
        .size:           4
        .value_kind:     by_value
      - .offset:         112
        .size:           4
        .value_kind:     hidden_block_count_x
      - .offset:         116
        .size:           4
        .value_kind:     hidden_block_count_y
      - .offset:         120
        .size:           4
        .value_kind:     hidden_block_count_z
      - .offset:         124
        .size:           2
        .value_kind:     hidden_group_size_x
      - .offset:         126
        .size:           2
        .value_kind:     hidden_group_size_y
      - .offset:         128
        .size:           2
        .value_kind:     hidden_group_size_z
      - .offset:         130
        .size:           2
        .value_kind:     hidden_remainder_x
      - .offset:         132
        .size:           2
        .value_kind:     hidden_remainder_y
      - .offset:         134
        .size:           2
        .value_kind:     hidden_remainder_z
      - .offset:         152
        .size:           8
        .value_kind:     hidden_global_offset_x
      - .offset:         160
        .size:           8
        .value_kind:     hidden_global_offset_y
      - .offset:         168
        .size:           8
        .value_kind:     hidden_global_offset_z
      - .offset:         176
        .size:           2
        .value_kind:     hidden_grid_dims
    .group_segment_fixed_size: 0
    .kernarg_segment_align: 8
    .kernarg_segment_size: 368
    .language:       OpenCL C
    .language_version:
      - 2
      - 0
    .max_flat_workgroup_size: 512
    .name:           _ZL18rocblas_rot_kernelIiLi512E19rocblas_complex_numIdEPS1_S2_ddEviT2_lllT3_lllT4_lT5_li
    .private_segment_fixed_size: 0
    .sgpr_count:     28
    .sgpr_spill_count: 0
    .symbol:         _ZL18rocblas_rot_kernelIiLi512E19rocblas_complex_numIdEPS1_S2_ddEviT2_lllT3_lllT4_lT5_li.kd
    .uniform_work_group_size: 1
    .uses_dynamic_stack: false
    .vgpr_count:     18
    .vgpr_spill_count: 0
    .wavefront_size: 64
  - .args:
      - .offset:         0
        .size:           4
        .value_kind:     by_value
      - .address_space:  global
        .offset:         8
        .size:           8
        .value_kind:     global_buffer
      - .offset:         16
        .size:           8
        .value_kind:     by_value
      - .offset:         24
        .size:           8
        .value_kind:     by_value
      - .offset:         32
        .size:           8
        .value_kind:     by_value
      - .address_space:  global
        .offset:         40
        .size:           8
        .value_kind:     global_buffer
      - .offset:         48
        .size:           8
        .value_kind:     by_value
      - .offset:         56
        .size:           8
        .value_kind:     by_value
      - .offset:         64
        .size:           8
        .value_kind:     by_value
      - .address_space:  global
        .offset:         72
        .size:           8
        .value_kind:     global_buffer
      - .offset:         80
        .size:           8
        .value_kind:     by_value
      - .address_space:  global
        .offset:         88
        .size:           8
        .value_kind:     global_buffer
      - .offset:         96
        .size:           8
        .value_kind:     by_value
      - .offset:         104
        .size:           4
        .value_kind:     by_value
      - .offset:         112
        .size:           4
        .value_kind:     hidden_block_count_x
      - .offset:         116
        .size:           4
        .value_kind:     hidden_block_count_y
      - .offset:         120
        .size:           4
        .value_kind:     hidden_block_count_z
      - .offset:         124
        .size:           2
        .value_kind:     hidden_group_size_x
      - .offset:         126
        .size:           2
        .value_kind:     hidden_group_size_y
      - .offset:         128
        .size:           2
        .value_kind:     hidden_group_size_z
      - .offset:         130
        .size:           2
        .value_kind:     hidden_remainder_x
      - .offset:         132
        .size:           2
        .value_kind:     hidden_remainder_y
      - .offset:         134
        .size:           2
        .value_kind:     hidden_remainder_z
      - .offset:         152
        .size:           8
        .value_kind:     hidden_global_offset_x
      - .offset:         160
        .size:           8
        .value_kind:     hidden_global_offset_y
      - .offset:         168
        .size:           8
        .value_kind:     hidden_global_offset_z
      - .offset:         176
        .size:           2
        .value_kind:     hidden_grid_dims
    .group_segment_fixed_size: 0
    .kernarg_segment_align: 8
    .kernarg_segment_size: 368
    .language:       OpenCL C
    .language_version:
      - 2
      - 0
    .max_flat_workgroup_size: 512
    .name:           _ZL18rocblas_rot_kernelIiLi512E19rocblas_complex_numIdEPS1_S2_PKdPKS1_EviT2_lllT3_lllT4_lT5_li
    .private_segment_fixed_size: 0
    .sgpr_count:     28
    .sgpr_spill_count: 0
    .symbol:         _ZL18rocblas_rot_kernelIiLi512E19rocblas_complex_numIdEPS1_S2_PKdPKS1_EviT2_lllT3_lllT4_lT5_li.kd
    .uniform_work_group_size: 1
    .uses_dynamic_stack: false
    .vgpr_count:     19
    .vgpr_spill_count: 0
    .wavefront_size: 64
  - .args:
      - .offset:         0
        .size:           4
        .value_kind:     by_value
      - .address_space:  global
        .offset:         8
        .size:           8
        .value_kind:     global_buffer
      - .offset:         16
        .size:           8
        .value_kind:     by_value
      - .offset:         24
        .size:           8
        .value_kind:     by_value
      - .offset:         32
        .size:           8
        .value_kind:     by_value
      - .address_space:  global
        .offset:         40
        .size:           8
        .value_kind:     global_buffer
      - .offset:         48
        .size:           8
        .value_kind:     by_value
      - .offset:         56
        .size:           8
        .value_kind:     by_value
      - .offset:         64
        .size:           8
        .value_kind:     by_value
      - .offset:         72
        .size:           8
        .value_kind:     by_value
      - .offset:         80
        .size:           8
        .value_kind:     by_value
      - .offset:         88
        .size:           16
        .value_kind:     by_value
      - .offset:         104
        .size:           8
        .value_kind:     by_value
      - .offset:         112
        .size:           4
        .value_kind:     by_value
      - .offset:         120
        .size:           4
        .value_kind:     hidden_block_count_x
      - .offset:         124
        .size:           4
        .value_kind:     hidden_block_count_y
      - .offset:         128
        .size:           4
        .value_kind:     hidden_block_count_z
      - .offset:         132
        .size:           2
        .value_kind:     hidden_group_size_x
      - .offset:         134
        .size:           2
        .value_kind:     hidden_group_size_y
      - .offset:         136
        .size:           2
        .value_kind:     hidden_group_size_z
      - .offset:         138
        .size:           2
        .value_kind:     hidden_remainder_x
      - .offset:         140
        .size:           2
        .value_kind:     hidden_remainder_y
      - .offset:         142
        .size:           2
        .value_kind:     hidden_remainder_z
      - .offset:         160
        .size:           8
        .value_kind:     hidden_global_offset_x
      - .offset:         168
        .size:           8
        .value_kind:     hidden_global_offset_y
      - .offset:         176
        .size:           8
        .value_kind:     hidden_global_offset_z
      - .offset:         184
        .size:           2
        .value_kind:     hidden_grid_dims
    .group_segment_fixed_size: 0
    .kernarg_segment_align: 8
    .kernarg_segment_size: 376
    .language:       OpenCL C
    .language_version:
      - 2
      - 0
    .max_flat_workgroup_size: 512
    .name:           _ZL18rocblas_rot_kernelIiLi512E19rocblas_complex_numIdEPS1_S2_dS1_EviT2_lllT3_lllT4_lT5_li
    .private_segment_fixed_size: 0
    .sgpr_count:     28
    .sgpr_spill_count: 0
    .symbol:         _ZL18rocblas_rot_kernelIiLi512E19rocblas_complex_numIdEPS1_S2_dS1_EviT2_lllT3_lllT4_lT5_li.kd
    .uniform_work_group_size: 1
    .uses_dynamic_stack: false
    .vgpr_count:     19
    .vgpr_spill_count: 0
    .wavefront_size: 64
  - .args:
      - .offset:         0
        .size:           4
        .value_kind:     by_value
      - .address_space:  global
        .offset:         8
        .size:           8
        .value_kind:     global_buffer
      - .offset:         16
        .size:           8
        .value_kind:     by_value
      - .offset:         24
        .size:           8
        .value_kind:     by_value
      - .offset:         32
        .size:           8
        .value_kind:     by_value
      - .address_space:  global
        .offset:         40
        .size:           8
        .value_kind:     global_buffer
      - .offset:         48
        .size:           8
        .value_kind:     by_value
      - .offset:         56
        .size:           8
        .value_kind:     by_value
      - .offset:         64
        .size:           8
        .value_kind:     by_value
      - .address_space:  global
        .offset:         72
        .size:           8
        .value_kind:     global_buffer
      - .offset:         80
        .size:           8
        .value_kind:     by_value
      - .address_space:  global
        .offset:         88
        .size:           8
        .value_kind:     global_buffer
      - .offset:         96
        .size:           8
        .value_kind:     by_value
      - .offset:         104
        .size:           4
        .value_kind:     by_value
      - .offset:         112
        .size:           4
        .value_kind:     hidden_block_count_x
      - .offset:         116
        .size:           4
        .value_kind:     hidden_block_count_y
      - .offset:         120
        .size:           4
        .value_kind:     hidden_block_count_z
      - .offset:         124
        .size:           2
        .value_kind:     hidden_group_size_x
      - .offset:         126
        .size:           2
        .value_kind:     hidden_group_size_y
      - .offset:         128
        .size:           2
        .value_kind:     hidden_group_size_z
      - .offset:         130
        .size:           2
        .value_kind:     hidden_remainder_x
      - .offset:         132
        .size:           2
        .value_kind:     hidden_remainder_y
      - .offset:         134
        .size:           2
        .value_kind:     hidden_remainder_z
      - .offset:         152
        .size:           8
        .value_kind:     hidden_global_offset_x
      - .offset:         160
        .size:           8
        .value_kind:     hidden_global_offset_y
      - .offset:         168
        .size:           8
        .value_kind:     hidden_global_offset_z
      - .offset:         176
        .size:           2
        .value_kind:     hidden_grid_dims
    .group_segment_fixed_size: 0
    .kernarg_segment_align: 8
    .kernarg_segment_size: 368
    .language:       OpenCL C
    .language_version:
      - 2
      - 0
    .max_flat_workgroup_size: 512
    .name:           _ZL18rocblas_rot_kernelIiLi512E19rocblas_complex_numIdEPS1_S2_PKS1_S4_EviT2_lllT3_lllT4_lT5_li
    .private_segment_fixed_size: 0
    .sgpr_count:     28
    .sgpr_spill_count: 0
    .symbol:         _ZL18rocblas_rot_kernelIiLi512E19rocblas_complex_numIdEPS1_S2_PKS1_S4_EviT2_lllT3_lllT4_lT5_li.kd
    .uniform_work_group_size: 1
    .uses_dynamic_stack: false
    .vgpr_count:     19
    .vgpr_spill_count: 0
    .wavefront_size: 64
  - .args:
      - .offset:         0
        .size:           4
        .value_kind:     by_value
      - .address_space:  global
        .offset:         8
        .size:           8
        .value_kind:     global_buffer
      - .offset:         16
        .size:           8
        .value_kind:     by_value
      - .offset:         24
        .size:           8
        .value_kind:     by_value
      - .offset:         32
        .size:           8
        .value_kind:     by_value
      - .address_space:  global
        .offset:         40
        .size:           8
        .value_kind:     global_buffer
      - .offset:         48
        .size:           8
        .value_kind:     by_value
      - .offset:         56
        .size:           8
        .value_kind:     by_value
      - .offset:         64
        .size:           8
        .value_kind:     by_value
      - .offset:         72
        .size:           16
        .value_kind:     by_value
      - .offset:         88
        .size:           8
        .value_kind:     by_value
      - .offset:         96
        .size:           16
        .value_kind:     by_value
      - .offset:         112
        .size:           8
        .value_kind:     by_value
      - .offset:         120
        .size:           4
        .value_kind:     by_value
      - .offset:         128
        .size:           4
        .value_kind:     hidden_block_count_x
      - .offset:         132
        .size:           4
        .value_kind:     hidden_block_count_y
      - .offset:         136
        .size:           4
        .value_kind:     hidden_block_count_z
      - .offset:         140
        .size:           2
        .value_kind:     hidden_group_size_x
      - .offset:         142
        .size:           2
        .value_kind:     hidden_group_size_y
      - .offset:         144
        .size:           2
        .value_kind:     hidden_group_size_z
      - .offset:         146
        .size:           2
        .value_kind:     hidden_remainder_x
      - .offset:         148
        .size:           2
        .value_kind:     hidden_remainder_y
      - .offset:         150
        .size:           2
        .value_kind:     hidden_remainder_z
      - .offset:         168
        .size:           8
        .value_kind:     hidden_global_offset_x
      - .offset:         176
        .size:           8
        .value_kind:     hidden_global_offset_y
      - .offset:         184
        .size:           8
        .value_kind:     hidden_global_offset_z
      - .offset:         192
        .size:           2
        .value_kind:     hidden_grid_dims
    .group_segment_fixed_size: 0
    .kernarg_segment_align: 8
    .kernarg_segment_size: 384
    .language:       OpenCL C
    .language_version:
      - 2
      - 0
    .max_flat_workgroup_size: 512
    .name:           _ZL18rocblas_rot_kernelIiLi512E19rocblas_complex_numIdEPS1_S2_S1_S1_EviT2_lllT3_lllT4_lT5_li
    .private_segment_fixed_size: 0
    .sgpr_count:     28
    .sgpr_spill_count: 0
    .symbol:         _ZL18rocblas_rot_kernelIiLi512E19rocblas_complex_numIdEPS1_S2_S1_S1_EviT2_lllT3_lllT4_lT5_li.kd
    .uniform_work_group_size: 1
    .uses_dynamic_stack: false
    .vgpr_count:     19
    .vgpr_spill_count: 0
    .wavefront_size: 64
  - .args:
      - .offset:         0
        .size:           4
        .value_kind:     by_value
      - .address_space:  global
        .offset:         8
        .size:           8
        .value_kind:     global_buffer
      - .offset:         16
        .size:           8
        .value_kind:     by_value
      - .offset:         24
        .size:           8
        .value_kind:     by_value
      - .offset:         32
        .size:           8
        .value_kind:     by_value
      - .address_space:  global
        .offset:         40
        .size:           8
        .value_kind:     global_buffer
      - .offset:         48
        .size:           8
        .value_kind:     by_value
      - .offset:         56
        .size:           8
        .value_kind:     by_value
      - .offset:         64
        .size:           8
        .value_kind:     by_value
      - .address_space:  global
        .offset:         72
        .size:           8
        .value_kind:     global_buffer
      - .offset:         80
        .size:           8
        .value_kind:     by_value
      - .address_space:  global
        .offset:         88
        .size:           8
        .value_kind:     global_buffer
      - .offset:         96
        .size:           8
        .value_kind:     by_value
      - .offset:         104
        .size:           4
        .value_kind:     by_value
      - .offset:         112
        .size:           4
        .value_kind:     hidden_block_count_x
      - .offset:         116
        .size:           4
        .value_kind:     hidden_block_count_y
      - .offset:         120
        .size:           4
        .value_kind:     hidden_block_count_z
      - .offset:         124
        .size:           2
        .value_kind:     hidden_group_size_x
      - .offset:         126
        .size:           2
        .value_kind:     hidden_group_size_y
      - .offset:         128
        .size:           2
        .value_kind:     hidden_group_size_z
      - .offset:         130
        .size:           2
        .value_kind:     hidden_remainder_x
      - .offset:         132
        .size:           2
        .value_kind:     hidden_remainder_y
      - .offset:         134
        .size:           2
        .value_kind:     hidden_remainder_z
      - .offset:         152
        .size:           8
        .value_kind:     hidden_global_offset_x
      - .offset:         160
        .size:           8
        .value_kind:     hidden_global_offset_y
      - .offset:         168
        .size:           8
        .value_kind:     hidden_global_offset_z
      - .offset:         176
        .size:           2
        .value_kind:     hidden_grid_dims
    .group_segment_fixed_size: 0
    .kernarg_segment_align: 8
    .kernarg_segment_size: 368
    .language:       OpenCL C
    .language_version:
      - 2
      - 0
    .max_flat_workgroup_size: 512
    .name:           _ZL18rocblas_rot_kernelIiLi512EfPKPfS2_PKfS4_EviT2_lllT3_lllT4_lT5_li
    .private_segment_fixed_size: 0
    .sgpr_count:     24
    .sgpr_spill_count: 0
    .symbol:         _ZL18rocblas_rot_kernelIiLi512EfPKPfS2_PKfS4_EviT2_lllT3_lllT4_lT5_li.kd
    .uniform_work_group_size: 1
    .uses_dynamic_stack: false
    .vgpr_count:     8
    .vgpr_spill_count: 0
    .wavefront_size: 64
  - .args:
      - .offset:         0
        .size:           4
        .value_kind:     by_value
      - .address_space:  global
        .offset:         8
        .size:           8
        .value_kind:     global_buffer
      - .offset:         16
        .size:           8
        .value_kind:     by_value
      - .offset:         24
        .size:           8
        .value_kind:     by_value
      - .offset:         32
        .size:           8
        .value_kind:     by_value
      - .address_space:  global
        .offset:         40
        .size:           8
        .value_kind:     global_buffer
      - .offset:         48
        .size:           8
        .value_kind:     by_value
      - .offset:         56
        .size:           8
        .value_kind:     by_value
      - .offset:         64
        .size:           8
        .value_kind:     by_value
      - .offset:         72
        .size:           4
        .value_kind:     by_value
      - .offset:         80
        .size:           8
        .value_kind:     by_value
      - .offset:         88
        .size:           4
        .value_kind:     by_value
      - .offset:         96
        .size:           8
        .value_kind:     by_value
      - .offset:         104
        .size:           4
        .value_kind:     by_value
      - .offset:         112
        .size:           4
        .value_kind:     hidden_block_count_x
      - .offset:         116
        .size:           4
        .value_kind:     hidden_block_count_y
      - .offset:         120
        .size:           4
        .value_kind:     hidden_block_count_z
      - .offset:         124
        .size:           2
        .value_kind:     hidden_group_size_x
      - .offset:         126
        .size:           2
        .value_kind:     hidden_group_size_y
      - .offset:         128
        .size:           2
        .value_kind:     hidden_group_size_z
      - .offset:         130
        .size:           2
        .value_kind:     hidden_remainder_x
      - .offset:         132
        .size:           2
        .value_kind:     hidden_remainder_y
      - .offset:         134
        .size:           2
        .value_kind:     hidden_remainder_z
      - .offset:         152
        .size:           8
        .value_kind:     hidden_global_offset_x
      - .offset:         160
        .size:           8
        .value_kind:     hidden_global_offset_y
      - .offset:         168
        .size:           8
        .value_kind:     hidden_global_offset_z
      - .offset:         176
        .size:           2
        .value_kind:     hidden_grid_dims
    .group_segment_fixed_size: 0
    .kernarg_segment_align: 8
    .kernarg_segment_size: 368
    .language:       OpenCL C
    .language_version:
      - 2
      - 0
    .max_flat_workgroup_size: 512
    .name:           _ZL18rocblas_rot_kernelIiLi512EfPKPfS2_ffEviT2_lllT3_lllT4_lT5_li
    .private_segment_fixed_size: 0
    .sgpr_count:     22
    .sgpr_spill_count: 0
    .symbol:         _ZL18rocblas_rot_kernelIiLi512EfPKPfS2_ffEviT2_lllT3_lllT4_lT5_li.kd
    .uniform_work_group_size: 1
    .uses_dynamic_stack: false
    .vgpr_count:     8
    .vgpr_spill_count: 0
    .wavefront_size: 64
  - .args:
      - .offset:         0
        .size:           4
        .value_kind:     by_value
      - .address_space:  global
        .offset:         8
        .size:           8
        .value_kind:     global_buffer
      - .offset:         16
        .size:           8
        .value_kind:     by_value
      - .offset:         24
        .size:           8
        .value_kind:     by_value
      - .offset:         32
        .size:           8
        .value_kind:     by_value
      - .address_space:  global
        .offset:         40
        .size:           8
        .value_kind:     global_buffer
      - .offset:         48
        .size:           8
        .value_kind:     by_value
      - .offset:         56
        .size:           8
        .value_kind:     by_value
      - .offset:         64
        .size:           8
        .value_kind:     by_value
      - .address_space:  global
        .offset:         72
        .size:           8
        .value_kind:     global_buffer
      - .offset:         80
        .size:           8
        .value_kind:     by_value
      - .address_space:  global
        .offset:         88
        .size:           8
        .value_kind:     global_buffer
      - .offset:         96
        .size:           8
        .value_kind:     by_value
      - .offset:         104
        .size:           4
        .value_kind:     by_value
      - .offset:         112
        .size:           4
        .value_kind:     hidden_block_count_x
      - .offset:         116
        .size:           4
        .value_kind:     hidden_block_count_y
      - .offset:         120
        .size:           4
        .value_kind:     hidden_block_count_z
      - .offset:         124
        .size:           2
        .value_kind:     hidden_group_size_x
      - .offset:         126
        .size:           2
        .value_kind:     hidden_group_size_y
      - .offset:         128
        .size:           2
        .value_kind:     hidden_group_size_z
      - .offset:         130
        .size:           2
        .value_kind:     hidden_remainder_x
      - .offset:         132
        .size:           2
        .value_kind:     hidden_remainder_y
      - .offset:         134
        .size:           2
        .value_kind:     hidden_remainder_z
      - .offset:         152
        .size:           8
        .value_kind:     hidden_global_offset_x
      - .offset:         160
        .size:           8
        .value_kind:     hidden_global_offset_y
      - .offset:         168
        .size:           8
        .value_kind:     hidden_global_offset_z
      - .offset:         176
        .size:           2
        .value_kind:     hidden_grid_dims
    .group_segment_fixed_size: 0
    .kernarg_segment_align: 8
    .kernarg_segment_size: 368
    .language:       OpenCL C
    .language_version:
      - 2
      - 0
    .max_flat_workgroup_size: 512
    .name:           _ZL18rocblas_rot_kernelIiLi512EdPKPdS2_PKdS4_EviT2_lllT3_lllT4_lT5_li
    .private_segment_fixed_size: 0
    .sgpr_count:     24
    .sgpr_spill_count: 0
    .symbol:         _ZL18rocblas_rot_kernelIiLi512EdPKPdS2_PKdS4_EviT2_lllT3_lllT4_lT5_li.kd
    .uniform_work_group_size: 1
    .uses_dynamic_stack: false
    .vgpr_count:     13
    .vgpr_spill_count: 0
    .wavefront_size: 64
  - .args:
      - .offset:         0
        .size:           4
        .value_kind:     by_value
      - .address_space:  global
        .offset:         8
        .size:           8
        .value_kind:     global_buffer
      - .offset:         16
        .size:           8
        .value_kind:     by_value
      - .offset:         24
        .size:           8
        .value_kind:     by_value
      - .offset:         32
        .size:           8
        .value_kind:     by_value
      - .address_space:  global
        .offset:         40
        .size:           8
        .value_kind:     global_buffer
      - .offset:         48
        .size:           8
        .value_kind:     by_value
      - .offset:         56
        .size:           8
        .value_kind:     by_value
      - .offset:         64
        .size:           8
        .value_kind:     by_value
      - .offset:         72
        .size:           8
        .value_kind:     by_value
      - .offset:         80
        .size:           8
        .value_kind:     by_value
      - .offset:         88
        .size:           8
        .value_kind:     by_value
      - .offset:         96
        .size:           8
        .value_kind:     by_value
      - .offset:         104
        .size:           4
        .value_kind:     by_value
      - .offset:         112
        .size:           4
        .value_kind:     hidden_block_count_x
      - .offset:         116
        .size:           4
        .value_kind:     hidden_block_count_y
      - .offset:         120
        .size:           4
        .value_kind:     hidden_block_count_z
      - .offset:         124
        .size:           2
        .value_kind:     hidden_group_size_x
      - .offset:         126
        .size:           2
        .value_kind:     hidden_group_size_y
      - .offset:         128
        .size:           2
        .value_kind:     hidden_group_size_z
      - .offset:         130
        .size:           2
        .value_kind:     hidden_remainder_x
      - .offset:         132
        .size:           2
        .value_kind:     hidden_remainder_y
      - .offset:         134
        .size:           2
        .value_kind:     hidden_remainder_z
      - .offset:         152
        .size:           8
        .value_kind:     hidden_global_offset_x
      - .offset:         160
        .size:           8
        .value_kind:     hidden_global_offset_y
      - .offset:         168
        .size:           8
        .value_kind:     hidden_global_offset_z
      - .offset:         176
        .size:           2
        .value_kind:     hidden_grid_dims
    .group_segment_fixed_size: 0
    .kernarg_segment_align: 8
    .kernarg_segment_size: 368
    .language:       OpenCL C
    .language_version:
      - 2
      - 0
    .max_flat_workgroup_size: 512
    .name:           _ZL18rocblas_rot_kernelIiLi512EdPKPdS2_ddEviT2_lllT3_lllT4_lT5_li
    .private_segment_fixed_size: 0
    .sgpr_count:     22
    .sgpr_spill_count: 0
    .symbol:         _ZL18rocblas_rot_kernelIiLi512EdPKPdS2_ddEviT2_lllT3_lllT4_lT5_li.kd
    .uniform_work_group_size: 1
    .uses_dynamic_stack: false
    .vgpr_count:     13
    .vgpr_spill_count: 0
    .wavefront_size: 64
  - .args:
      - .offset:         0
        .size:           4
        .value_kind:     by_value
      - .address_space:  global
        .offset:         8
        .size:           8
        .value_kind:     global_buffer
      - .offset:         16
        .size:           8
        .value_kind:     by_value
      - .offset:         24
        .size:           8
        .value_kind:     by_value
      - .offset:         32
        .size:           8
        .value_kind:     by_value
      - .address_space:  global
        .offset:         40
        .size:           8
        .value_kind:     global_buffer
      - .offset:         48
        .size:           8
        .value_kind:     by_value
      - .offset:         56
        .size:           8
        .value_kind:     by_value
      - .offset:         64
        .size:           8
        .value_kind:     by_value
      - .address_space:  global
        .offset:         72
        .size:           8
        .value_kind:     global_buffer
      - .offset:         80
        .size:           8
        .value_kind:     by_value
      - .address_space:  global
        .offset:         88
        .size:           8
        .value_kind:     global_buffer
      - .offset:         96
        .size:           8
        .value_kind:     by_value
      - .offset:         104
        .size:           4
        .value_kind:     by_value
      - .offset:         112
        .size:           4
        .value_kind:     hidden_block_count_x
      - .offset:         116
        .size:           4
        .value_kind:     hidden_block_count_y
      - .offset:         120
        .size:           4
        .value_kind:     hidden_block_count_z
      - .offset:         124
        .size:           2
        .value_kind:     hidden_group_size_x
      - .offset:         126
        .size:           2
        .value_kind:     hidden_group_size_y
      - .offset:         128
        .size:           2
        .value_kind:     hidden_group_size_z
      - .offset:         130
        .size:           2
        .value_kind:     hidden_remainder_x
      - .offset:         132
        .size:           2
        .value_kind:     hidden_remainder_y
      - .offset:         134
        .size:           2
        .value_kind:     hidden_remainder_z
      - .offset:         152
        .size:           8
        .value_kind:     hidden_global_offset_x
      - .offset:         160
        .size:           8
        .value_kind:     hidden_global_offset_y
      - .offset:         168
        .size:           8
        .value_kind:     hidden_global_offset_z
      - .offset:         176
        .size:           2
        .value_kind:     hidden_grid_dims
    .group_segment_fixed_size: 0
    .kernarg_segment_align: 8
    .kernarg_segment_size: 368
    .language:       OpenCL C
    .language_version:
      - 2
      - 0
    .max_flat_workgroup_size: 512
    .name:           _ZL18rocblas_rot_kernelIiLi512EfPKP16rocblas_bfloat16S3_PKS0_S5_EviT2_lllT3_lllT4_lT5_li
    .private_segment_fixed_size: 0
    .sgpr_count:     28
    .sgpr_spill_count: 0
    .symbol:         _ZL18rocblas_rot_kernelIiLi512EfPKP16rocblas_bfloat16S3_PKS0_S5_EviT2_lllT3_lllT4_lT5_li.kd
    .uniform_work_group_size: 1
    .uses_dynamic_stack: false
    .vgpr_count:     12
    .vgpr_spill_count: 0
    .wavefront_size: 64
  - .args:
      - .offset:         0
        .size:           4
        .value_kind:     by_value
      - .address_space:  global
        .offset:         8
        .size:           8
        .value_kind:     global_buffer
      - .offset:         16
        .size:           8
        .value_kind:     by_value
      - .offset:         24
        .size:           8
        .value_kind:     by_value
      - .offset:         32
        .size:           8
        .value_kind:     by_value
      - .address_space:  global
        .offset:         40
        .size:           8
        .value_kind:     global_buffer
      - .offset:         48
        .size:           8
        .value_kind:     by_value
      - .offset:         56
        .size:           8
        .value_kind:     by_value
      - .offset:         64
        .size:           8
        .value_kind:     by_value
      - .offset:         72
        .size:           2
        .value_kind:     by_value
      - .offset:         80
        .size:           8
        .value_kind:     by_value
      - .offset:         88
        .size:           2
        .value_kind:     by_value
      - .offset:         96
        .size:           8
        .value_kind:     by_value
      - .offset:         104
        .size:           4
        .value_kind:     by_value
      - .offset:         112
        .size:           4
        .value_kind:     hidden_block_count_x
      - .offset:         116
        .size:           4
        .value_kind:     hidden_block_count_y
      - .offset:         120
        .size:           4
        .value_kind:     hidden_block_count_z
      - .offset:         124
        .size:           2
        .value_kind:     hidden_group_size_x
      - .offset:         126
        .size:           2
        .value_kind:     hidden_group_size_y
      - .offset:         128
        .size:           2
        .value_kind:     hidden_group_size_z
      - .offset:         130
        .size:           2
        .value_kind:     hidden_remainder_x
      - .offset:         132
        .size:           2
        .value_kind:     hidden_remainder_y
      - .offset:         134
        .size:           2
        .value_kind:     hidden_remainder_z
      - .offset:         152
        .size:           8
        .value_kind:     hidden_global_offset_x
      - .offset:         160
        .size:           8
        .value_kind:     hidden_global_offset_y
      - .offset:         168
        .size:           8
        .value_kind:     hidden_global_offset_z
      - .offset:         176
        .size:           2
        .value_kind:     hidden_grid_dims
    .group_segment_fixed_size: 0
    .kernarg_segment_align: 8
    .kernarg_segment_size: 368
    .language:       OpenCL C
    .language_version:
      - 2
      - 0
    .max_flat_workgroup_size: 512
    .name:           _ZL18rocblas_rot_kernelIiLi512EfPKP16rocblas_bfloat16S3_S0_S0_EviT2_lllT3_lllT4_lT5_li
    .private_segment_fixed_size: 0
    .sgpr_count:     22
    .sgpr_spill_count: 0
    .symbol:         _ZL18rocblas_rot_kernelIiLi512EfPKP16rocblas_bfloat16S3_S0_S0_EviT2_lllT3_lllT4_lT5_li.kd
    .uniform_work_group_size: 1
    .uses_dynamic_stack: false
    .vgpr_count:     10
    .vgpr_spill_count: 0
    .wavefront_size: 64
  - .args:
      - .offset:         0
        .size:           4
        .value_kind:     by_value
      - .address_space:  global
        .offset:         8
        .size:           8
        .value_kind:     global_buffer
      - .offset:         16
        .size:           8
        .value_kind:     by_value
      - .offset:         24
        .size:           8
        .value_kind:     by_value
      - .offset:         32
        .size:           8
        .value_kind:     by_value
      - .address_space:  global
        .offset:         40
        .size:           8
        .value_kind:     global_buffer
      - .offset:         48
        .size:           8
        .value_kind:     by_value
      - .offset:         56
        .size:           8
        .value_kind:     by_value
      - .offset:         64
        .size:           8
        .value_kind:     by_value
      - .address_space:  global
        .offset:         72
        .size:           8
        .value_kind:     global_buffer
      - .offset:         80
        .size:           8
        .value_kind:     by_value
      - .address_space:  global
        .offset:         88
        .size:           8
        .value_kind:     global_buffer
      - .offset:         96
        .size:           8
        .value_kind:     by_value
      - .offset:         104
        .size:           4
        .value_kind:     by_value
      - .offset:         112
        .size:           4
        .value_kind:     hidden_block_count_x
      - .offset:         116
        .size:           4
        .value_kind:     hidden_block_count_y
      - .offset:         120
        .size:           4
        .value_kind:     hidden_block_count_z
      - .offset:         124
        .size:           2
        .value_kind:     hidden_group_size_x
      - .offset:         126
        .size:           2
        .value_kind:     hidden_group_size_y
      - .offset:         128
        .size:           2
        .value_kind:     hidden_group_size_z
      - .offset:         130
        .size:           2
        .value_kind:     hidden_remainder_x
      - .offset:         132
        .size:           2
        .value_kind:     hidden_remainder_y
      - .offset:         134
        .size:           2
        .value_kind:     hidden_remainder_z
      - .offset:         152
        .size:           8
        .value_kind:     hidden_global_offset_x
      - .offset:         160
        .size:           8
        .value_kind:     hidden_global_offset_y
      - .offset:         168
        .size:           8
        .value_kind:     hidden_global_offset_z
      - .offset:         176
        .size:           2
        .value_kind:     hidden_grid_dims
    .group_segment_fixed_size: 0
    .kernarg_segment_align: 8
    .kernarg_segment_size: 368
    .language:       OpenCL C
    .language_version:
      - 2
      - 0
    .max_flat_workgroup_size: 512
    .name:           _ZL18rocblas_rot_kernelIiLi512EfPKPDF16_S2_PKDF16_S4_EviT2_lllT3_lllT4_lT5_li
    .private_segment_fixed_size: 0
    .sgpr_count:     32
    .sgpr_spill_count: 0
    .symbol:         _ZL18rocblas_rot_kernelIiLi512EfPKPDF16_S2_PKDF16_S4_EviT2_lllT3_lllT4_lT5_li.kd
    .uniform_work_group_size: 1
    .uses_dynamic_stack: false
    .vgpr_count:     10
    .vgpr_spill_count: 0
    .wavefront_size: 64
  - .args:
      - .offset:         0
        .size:           4
        .value_kind:     by_value
      - .address_space:  global
        .offset:         8
        .size:           8
        .value_kind:     global_buffer
      - .offset:         16
        .size:           8
        .value_kind:     by_value
      - .offset:         24
        .size:           8
        .value_kind:     by_value
      - .offset:         32
        .size:           8
        .value_kind:     by_value
      - .address_space:  global
        .offset:         40
        .size:           8
        .value_kind:     global_buffer
      - .offset:         48
        .size:           8
        .value_kind:     by_value
      - .offset:         56
        .size:           8
        .value_kind:     by_value
      - .offset:         64
        .size:           8
        .value_kind:     by_value
      - .offset:         72
        .size:           2
        .value_kind:     by_value
      - .offset:         80
        .size:           8
        .value_kind:     by_value
      - .offset:         88
        .size:           2
        .value_kind:     by_value
      - .offset:         96
        .size:           8
        .value_kind:     by_value
      - .offset:         104
        .size:           4
        .value_kind:     by_value
      - .offset:         112
        .size:           4
        .value_kind:     hidden_block_count_x
      - .offset:         116
        .size:           4
        .value_kind:     hidden_block_count_y
      - .offset:         120
        .size:           4
        .value_kind:     hidden_block_count_z
      - .offset:         124
        .size:           2
        .value_kind:     hidden_group_size_x
      - .offset:         126
        .size:           2
        .value_kind:     hidden_group_size_y
      - .offset:         128
        .size:           2
        .value_kind:     hidden_group_size_z
      - .offset:         130
        .size:           2
        .value_kind:     hidden_remainder_x
      - .offset:         132
        .size:           2
        .value_kind:     hidden_remainder_y
      - .offset:         134
        .size:           2
        .value_kind:     hidden_remainder_z
      - .offset:         152
        .size:           8
        .value_kind:     hidden_global_offset_x
      - .offset:         160
        .size:           8
        .value_kind:     hidden_global_offset_y
      - .offset:         168
        .size:           8
        .value_kind:     hidden_global_offset_z
      - .offset:         176
        .size:           2
        .value_kind:     hidden_grid_dims
    .group_segment_fixed_size: 0
    .kernarg_segment_align: 8
    .kernarg_segment_size: 368
    .language:       OpenCL C
    .language_version:
      - 2
      - 0
    .max_flat_workgroup_size: 512
    .name:           _ZL18rocblas_rot_kernelIiLi512EfPKPDF16_S2_DF16_DF16_EviT2_lllT3_lllT4_lT5_li
    .private_segment_fixed_size: 0
    .sgpr_count:     22
    .sgpr_spill_count: 0
    .symbol:         _ZL18rocblas_rot_kernelIiLi512EfPKPDF16_S2_DF16_DF16_EviT2_lllT3_lllT4_lT5_li.kd
    .uniform_work_group_size: 1
    .uses_dynamic_stack: false
    .vgpr_count:     8
    .vgpr_spill_count: 0
    .wavefront_size: 64
  - .args:
      - .offset:         0
        .size:           4
        .value_kind:     by_value
      - .address_space:  global
        .offset:         8
        .size:           8
        .value_kind:     global_buffer
      - .offset:         16
        .size:           8
        .value_kind:     by_value
      - .offset:         24
        .size:           8
        .value_kind:     by_value
      - .offset:         32
        .size:           8
        .value_kind:     by_value
      - .address_space:  global
        .offset:         40
        .size:           8
        .value_kind:     global_buffer
      - .offset:         48
        .size:           8
        .value_kind:     by_value
      - .offset:         56
        .size:           8
        .value_kind:     by_value
      - .offset:         64
        .size:           8
        .value_kind:     by_value
      - .address_space:  global
        .offset:         72
        .size:           8
        .value_kind:     global_buffer
      - .offset:         80
        .size:           8
        .value_kind:     by_value
      - .address_space:  global
        .offset:         88
        .size:           8
        .value_kind:     global_buffer
      - .offset:         96
        .size:           8
        .value_kind:     by_value
      - .offset:         104
        .size:           4
        .value_kind:     by_value
      - .offset:         112
        .size:           4
        .value_kind:     hidden_block_count_x
      - .offset:         116
        .size:           4
        .value_kind:     hidden_block_count_y
      - .offset:         120
        .size:           4
        .value_kind:     hidden_block_count_z
      - .offset:         124
        .size:           2
        .value_kind:     hidden_group_size_x
      - .offset:         126
        .size:           2
        .value_kind:     hidden_group_size_y
      - .offset:         128
        .size:           2
        .value_kind:     hidden_group_size_z
      - .offset:         130
        .size:           2
        .value_kind:     hidden_remainder_x
      - .offset:         132
        .size:           2
        .value_kind:     hidden_remainder_y
      - .offset:         134
        .size:           2
        .value_kind:     hidden_remainder_z
      - .offset:         152
        .size:           8
        .value_kind:     hidden_global_offset_x
      - .offset:         160
        .size:           8
        .value_kind:     hidden_global_offset_y
      - .offset:         168
        .size:           8
        .value_kind:     hidden_global_offset_z
      - .offset:         176
        .size:           2
        .value_kind:     hidden_grid_dims
    .group_segment_fixed_size: 0
    .kernarg_segment_align: 8
    .kernarg_segment_size: 368
    .language:       OpenCL C
    .language_version:
      - 2
      - 0
    .max_flat_workgroup_size: 512
    .name:           _ZL18rocblas_rot_kernelIiLi512E19rocblas_complex_numIfEPKPS1_S4_PKfS6_EviT2_lllT3_lllT4_lT5_li
    .private_segment_fixed_size: 0
    .sgpr_count:     24
    .sgpr_spill_count: 0
    .symbol:         _ZL18rocblas_rot_kernelIiLi512E19rocblas_complex_numIfEPKPS1_S4_PKfS6_EviT2_lllT3_lllT4_lT5_li.kd
    .uniform_work_group_size: 1
    .uses_dynamic_stack: false
    .vgpr_count:     10
    .vgpr_spill_count: 0
    .wavefront_size: 64
  - .args:
      - .offset:         0
        .size:           4
        .value_kind:     by_value
      - .address_space:  global
        .offset:         8
        .size:           8
        .value_kind:     global_buffer
      - .offset:         16
        .size:           8
        .value_kind:     by_value
      - .offset:         24
        .size:           8
        .value_kind:     by_value
      - .offset:         32
        .size:           8
        .value_kind:     by_value
      - .address_space:  global
        .offset:         40
        .size:           8
        .value_kind:     global_buffer
      - .offset:         48
        .size:           8
        .value_kind:     by_value
      - .offset:         56
        .size:           8
        .value_kind:     by_value
      - .offset:         64
        .size:           8
        .value_kind:     by_value
      - .offset:         72
        .size:           4
        .value_kind:     by_value
      - .offset:         80
        .size:           8
        .value_kind:     by_value
      - .offset:         88
        .size:           4
        .value_kind:     by_value
      - .offset:         96
        .size:           8
        .value_kind:     by_value
      - .offset:         104
        .size:           4
        .value_kind:     by_value
      - .offset:         112
        .size:           4
        .value_kind:     hidden_block_count_x
      - .offset:         116
        .size:           4
        .value_kind:     hidden_block_count_y
      - .offset:         120
        .size:           4
        .value_kind:     hidden_block_count_z
      - .offset:         124
        .size:           2
        .value_kind:     hidden_group_size_x
      - .offset:         126
        .size:           2
        .value_kind:     hidden_group_size_y
      - .offset:         128
        .size:           2
        .value_kind:     hidden_group_size_z
      - .offset:         130
        .size:           2
        .value_kind:     hidden_remainder_x
      - .offset:         132
        .size:           2
        .value_kind:     hidden_remainder_y
      - .offset:         134
        .size:           2
        .value_kind:     hidden_remainder_z
      - .offset:         152
        .size:           8
        .value_kind:     hidden_global_offset_x
      - .offset:         160
        .size:           8
        .value_kind:     hidden_global_offset_y
      - .offset:         168
        .size:           8
        .value_kind:     hidden_global_offset_z
      - .offset:         176
        .size:           2
        .value_kind:     hidden_grid_dims
    .group_segment_fixed_size: 0
    .kernarg_segment_align: 8
    .kernarg_segment_size: 368
    .language:       OpenCL C
    .language_version:
      - 2
      - 0
    .max_flat_workgroup_size: 512
    .name:           _ZL18rocblas_rot_kernelIiLi512E19rocblas_complex_numIfEPKPS1_S4_ffEviT2_lllT3_lllT4_lT5_li
    .private_segment_fixed_size: 0
    .sgpr_count:     22
    .sgpr_spill_count: 0
    .symbol:         _ZL18rocblas_rot_kernelIiLi512E19rocblas_complex_numIfEPKPS1_S4_ffEviT2_lllT3_lllT4_lT5_li.kd
    .uniform_work_group_size: 1
    .uses_dynamic_stack: false
    .vgpr_count:     10
    .vgpr_spill_count: 0
    .wavefront_size: 64
  - .args:
      - .offset:         0
        .size:           4
        .value_kind:     by_value
      - .address_space:  global
        .offset:         8
        .size:           8
        .value_kind:     global_buffer
      - .offset:         16
        .size:           8
        .value_kind:     by_value
      - .offset:         24
        .size:           8
        .value_kind:     by_value
      - .offset:         32
        .size:           8
        .value_kind:     by_value
      - .address_space:  global
        .offset:         40
        .size:           8
        .value_kind:     global_buffer
      - .offset:         48
        .size:           8
        .value_kind:     by_value
      - .offset:         56
        .size:           8
        .value_kind:     by_value
      - .offset:         64
        .size:           8
        .value_kind:     by_value
      - .address_space:  global
        .offset:         72
        .size:           8
        .value_kind:     global_buffer
      - .offset:         80
        .size:           8
        .value_kind:     by_value
      - .address_space:  global
        .offset:         88
        .size:           8
        .value_kind:     global_buffer
      - .offset:         96
        .size:           8
        .value_kind:     by_value
      - .offset:         104
        .size:           4
        .value_kind:     by_value
      - .offset:         112
        .size:           4
        .value_kind:     hidden_block_count_x
      - .offset:         116
        .size:           4
        .value_kind:     hidden_block_count_y
      - .offset:         120
        .size:           4
        .value_kind:     hidden_block_count_z
      - .offset:         124
        .size:           2
        .value_kind:     hidden_group_size_x
      - .offset:         126
        .size:           2
        .value_kind:     hidden_group_size_y
      - .offset:         128
        .size:           2
        .value_kind:     hidden_group_size_z
      - .offset:         130
        .size:           2
        .value_kind:     hidden_remainder_x
      - .offset:         132
        .size:           2
        .value_kind:     hidden_remainder_y
      - .offset:         134
        .size:           2
        .value_kind:     hidden_remainder_z
      - .offset:         152
        .size:           8
        .value_kind:     hidden_global_offset_x
      - .offset:         160
        .size:           8
        .value_kind:     hidden_global_offset_y
      - .offset:         168
        .size:           8
        .value_kind:     hidden_global_offset_z
      - .offset:         176
        .size:           2
        .value_kind:     hidden_grid_dims
    .group_segment_fixed_size: 0
    .kernarg_segment_align: 8
    .kernarg_segment_size: 368
    .language:       OpenCL C
    .language_version:
      - 2
      - 0
    .max_flat_workgroup_size: 512
    .name:           _ZL18rocblas_rot_kernelIiLi512E19rocblas_complex_numIfEPKPS1_S4_PKfPKS1_EviT2_lllT3_lllT4_lT5_li
    .private_segment_fixed_size: 0
    .sgpr_count:     24
    .sgpr_spill_count: 0
    .symbol:         _ZL18rocblas_rot_kernelIiLi512E19rocblas_complex_numIfEPKPS1_S4_PKfPKS1_EviT2_lllT3_lllT4_lT5_li.kd
    .uniform_work_group_size: 1
    .uses_dynamic_stack: false
    .vgpr_count:     12
    .vgpr_spill_count: 0
    .wavefront_size: 64
  - .args:
      - .offset:         0
        .size:           4
        .value_kind:     by_value
      - .address_space:  global
        .offset:         8
        .size:           8
        .value_kind:     global_buffer
      - .offset:         16
        .size:           8
        .value_kind:     by_value
      - .offset:         24
        .size:           8
        .value_kind:     by_value
      - .offset:         32
        .size:           8
        .value_kind:     by_value
      - .address_space:  global
        .offset:         40
        .size:           8
        .value_kind:     global_buffer
      - .offset:         48
        .size:           8
        .value_kind:     by_value
      - .offset:         56
        .size:           8
        .value_kind:     by_value
      - .offset:         64
        .size:           8
        .value_kind:     by_value
      - .offset:         72
        .size:           4
        .value_kind:     by_value
      - .offset:         80
        .size:           8
        .value_kind:     by_value
      - .offset:         88
        .size:           8
        .value_kind:     by_value
      - .offset:         96
        .size:           8
        .value_kind:     by_value
      - .offset:         104
        .size:           4
        .value_kind:     by_value
      - .offset:         112
        .size:           4
        .value_kind:     hidden_block_count_x
      - .offset:         116
        .size:           4
        .value_kind:     hidden_block_count_y
      - .offset:         120
        .size:           4
        .value_kind:     hidden_block_count_z
      - .offset:         124
        .size:           2
        .value_kind:     hidden_group_size_x
      - .offset:         126
        .size:           2
        .value_kind:     hidden_group_size_y
      - .offset:         128
        .size:           2
        .value_kind:     hidden_group_size_z
      - .offset:         130
        .size:           2
        .value_kind:     hidden_remainder_x
      - .offset:         132
        .size:           2
        .value_kind:     hidden_remainder_y
      - .offset:         134
        .size:           2
        .value_kind:     hidden_remainder_z
      - .offset:         152
        .size:           8
        .value_kind:     hidden_global_offset_x
      - .offset:         160
        .size:           8
        .value_kind:     hidden_global_offset_y
      - .offset:         168
        .size:           8
        .value_kind:     hidden_global_offset_z
      - .offset:         176
        .size:           2
        .value_kind:     hidden_grid_dims
    .group_segment_fixed_size: 0
    .kernarg_segment_align: 8
    .kernarg_segment_size: 368
    .language:       OpenCL C
    .language_version:
      - 2
      - 0
    .max_flat_workgroup_size: 512
    .name:           _ZL18rocblas_rot_kernelIiLi512E19rocblas_complex_numIfEPKPS1_S4_fS1_EviT2_lllT3_lllT4_lT5_li
    .private_segment_fixed_size: 0
    .sgpr_count:     22
    .sgpr_spill_count: 0
    .symbol:         _ZL18rocblas_rot_kernelIiLi512E19rocblas_complex_numIfEPKPS1_S4_fS1_EviT2_lllT3_lllT4_lT5_li.kd
    .uniform_work_group_size: 1
    .uses_dynamic_stack: false
    .vgpr_count:     12
    .vgpr_spill_count: 0
    .wavefront_size: 64
  - .args:
      - .offset:         0
        .size:           4
        .value_kind:     by_value
      - .address_space:  global
        .offset:         8
        .size:           8
        .value_kind:     global_buffer
      - .offset:         16
        .size:           8
        .value_kind:     by_value
      - .offset:         24
        .size:           8
        .value_kind:     by_value
      - .offset:         32
        .size:           8
        .value_kind:     by_value
      - .address_space:  global
        .offset:         40
        .size:           8
        .value_kind:     global_buffer
      - .offset:         48
        .size:           8
        .value_kind:     by_value
      - .offset:         56
        .size:           8
        .value_kind:     by_value
      - .offset:         64
        .size:           8
        .value_kind:     by_value
      - .address_space:  global
        .offset:         72
        .size:           8
        .value_kind:     global_buffer
      - .offset:         80
        .size:           8
        .value_kind:     by_value
      - .address_space:  global
        .offset:         88
        .size:           8
        .value_kind:     global_buffer
      - .offset:         96
        .size:           8
        .value_kind:     by_value
      - .offset:         104
        .size:           4
        .value_kind:     by_value
      - .offset:         112
        .size:           4
        .value_kind:     hidden_block_count_x
      - .offset:         116
        .size:           4
        .value_kind:     hidden_block_count_y
      - .offset:         120
        .size:           4
        .value_kind:     hidden_block_count_z
      - .offset:         124
        .size:           2
        .value_kind:     hidden_group_size_x
      - .offset:         126
        .size:           2
        .value_kind:     hidden_group_size_y
      - .offset:         128
        .size:           2
        .value_kind:     hidden_group_size_z
      - .offset:         130
        .size:           2
        .value_kind:     hidden_remainder_x
      - .offset:         132
        .size:           2
        .value_kind:     hidden_remainder_y
      - .offset:         134
        .size:           2
        .value_kind:     hidden_remainder_z
      - .offset:         152
        .size:           8
        .value_kind:     hidden_global_offset_x
      - .offset:         160
        .size:           8
        .value_kind:     hidden_global_offset_y
      - .offset:         168
        .size:           8
        .value_kind:     hidden_global_offset_z
      - .offset:         176
        .size:           2
        .value_kind:     hidden_grid_dims
    .group_segment_fixed_size: 0
    .kernarg_segment_align: 8
    .kernarg_segment_size: 368
    .language:       OpenCL C
    .language_version:
      - 2
      - 0
    .max_flat_workgroup_size: 512
    .name:           _ZL18rocblas_rot_kernelIiLi512E19rocblas_complex_numIfEPKPS1_S4_PKS1_S6_EviT2_lllT3_lllT4_lT5_li
    .private_segment_fixed_size: 0
    .sgpr_count:     24
    .sgpr_spill_count: 0
    .symbol:         _ZL18rocblas_rot_kernelIiLi512E19rocblas_complex_numIfEPKPS1_S4_PKS1_S6_EviT2_lllT3_lllT4_lT5_li.kd
    .uniform_work_group_size: 1
    .uses_dynamic_stack: false
    .vgpr_count:     12
    .vgpr_spill_count: 0
    .wavefront_size: 64
  - .args:
      - .offset:         0
        .size:           4
        .value_kind:     by_value
      - .address_space:  global
        .offset:         8
        .size:           8
        .value_kind:     global_buffer
      - .offset:         16
        .size:           8
        .value_kind:     by_value
      - .offset:         24
        .size:           8
        .value_kind:     by_value
      - .offset:         32
        .size:           8
        .value_kind:     by_value
      - .address_space:  global
        .offset:         40
        .size:           8
        .value_kind:     global_buffer
      - .offset:         48
        .size:           8
        .value_kind:     by_value
      - .offset:         56
        .size:           8
        .value_kind:     by_value
      - .offset:         64
        .size:           8
        .value_kind:     by_value
      - .offset:         72
        .size:           8
        .value_kind:     by_value
      - .offset:         80
        .size:           8
        .value_kind:     by_value
      - .offset:         88
        .size:           8
        .value_kind:     by_value
      - .offset:         96
        .size:           8
        .value_kind:     by_value
      - .offset:         104
        .size:           4
        .value_kind:     by_value
      - .offset:         112
        .size:           4
        .value_kind:     hidden_block_count_x
      - .offset:         116
        .size:           4
        .value_kind:     hidden_block_count_y
      - .offset:         120
        .size:           4
        .value_kind:     hidden_block_count_z
      - .offset:         124
        .size:           2
        .value_kind:     hidden_group_size_x
      - .offset:         126
        .size:           2
        .value_kind:     hidden_group_size_y
      - .offset:         128
        .size:           2
        .value_kind:     hidden_group_size_z
      - .offset:         130
        .size:           2
        .value_kind:     hidden_remainder_x
      - .offset:         132
        .size:           2
        .value_kind:     hidden_remainder_y
      - .offset:         134
        .size:           2
        .value_kind:     hidden_remainder_z
      - .offset:         152
        .size:           8
        .value_kind:     hidden_global_offset_x
      - .offset:         160
        .size:           8
        .value_kind:     hidden_global_offset_y
      - .offset:         168
        .size:           8
        .value_kind:     hidden_global_offset_z
      - .offset:         176
        .size:           2
        .value_kind:     hidden_grid_dims
    .group_segment_fixed_size: 0
    .kernarg_segment_align: 8
    .kernarg_segment_size: 368
    .language:       OpenCL C
    .language_version:
      - 2
      - 0
    .max_flat_workgroup_size: 512
    .name:           _ZL18rocblas_rot_kernelIiLi512E19rocblas_complex_numIfEPKPS1_S4_S1_S1_EviT2_lllT3_lllT4_lT5_li
    .private_segment_fixed_size: 0
    .sgpr_count:     22
    .sgpr_spill_count: 0
    .symbol:         _ZL18rocblas_rot_kernelIiLi512E19rocblas_complex_numIfEPKPS1_S4_S1_S1_EviT2_lllT3_lllT4_lT5_li.kd
    .uniform_work_group_size: 1
    .uses_dynamic_stack: false
    .vgpr_count:     12
    .vgpr_spill_count: 0
    .wavefront_size: 64
  - .args:
      - .offset:         0
        .size:           4
        .value_kind:     by_value
      - .address_space:  global
        .offset:         8
        .size:           8
        .value_kind:     global_buffer
      - .offset:         16
        .size:           8
        .value_kind:     by_value
      - .offset:         24
        .size:           8
        .value_kind:     by_value
      - .offset:         32
        .size:           8
        .value_kind:     by_value
      - .address_space:  global
        .offset:         40
        .size:           8
        .value_kind:     global_buffer
      - .offset:         48
        .size:           8
        .value_kind:     by_value
      - .offset:         56
        .size:           8
        .value_kind:     by_value
      - .offset:         64
        .size:           8
        .value_kind:     by_value
      - .address_space:  global
        .offset:         72
        .size:           8
        .value_kind:     global_buffer
      - .offset:         80
        .size:           8
        .value_kind:     by_value
      - .address_space:  global
        .offset:         88
        .size:           8
        .value_kind:     global_buffer
      - .offset:         96
        .size:           8
        .value_kind:     by_value
      - .offset:         104
        .size:           4
        .value_kind:     by_value
      - .offset:         112
        .size:           4
        .value_kind:     hidden_block_count_x
      - .offset:         116
        .size:           4
        .value_kind:     hidden_block_count_y
      - .offset:         120
        .size:           4
        .value_kind:     hidden_block_count_z
      - .offset:         124
        .size:           2
        .value_kind:     hidden_group_size_x
      - .offset:         126
        .size:           2
        .value_kind:     hidden_group_size_y
      - .offset:         128
        .size:           2
        .value_kind:     hidden_group_size_z
      - .offset:         130
        .size:           2
        .value_kind:     hidden_remainder_x
      - .offset:         132
        .size:           2
        .value_kind:     hidden_remainder_y
      - .offset:         134
        .size:           2
        .value_kind:     hidden_remainder_z
      - .offset:         152
        .size:           8
        .value_kind:     hidden_global_offset_x
      - .offset:         160
        .size:           8
        .value_kind:     hidden_global_offset_y
      - .offset:         168
        .size:           8
        .value_kind:     hidden_global_offset_z
      - .offset:         176
        .size:           2
        .value_kind:     hidden_grid_dims
    .group_segment_fixed_size: 0
    .kernarg_segment_align: 8
    .kernarg_segment_size: 368
    .language:       OpenCL C
    .language_version:
      - 2
      - 0
    .max_flat_workgroup_size: 512
    .name:           _ZL18rocblas_rot_kernelIiLi512E19rocblas_complex_numIdEPKPS1_S4_PKS1_S6_EviT2_lllT3_lllT4_lT5_li
    .private_segment_fixed_size: 0
    .sgpr_count:     28
    .sgpr_spill_count: 0
    .symbol:         _ZL18rocblas_rot_kernelIiLi512E19rocblas_complex_numIdEPKPS1_S4_PKS1_S6_EviT2_lllT3_lllT4_lT5_li.kd
    .uniform_work_group_size: 1
    .uses_dynamic_stack: false
    .vgpr_count:     19
    .vgpr_spill_count: 0
    .wavefront_size: 64
  - .args:
      - .offset:         0
        .size:           4
        .value_kind:     by_value
      - .address_space:  global
        .offset:         8
        .size:           8
        .value_kind:     global_buffer
      - .offset:         16
        .size:           8
        .value_kind:     by_value
      - .offset:         24
        .size:           8
        .value_kind:     by_value
      - .offset:         32
        .size:           8
        .value_kind:     by_value
      - .address_space:  global
        .offset:         40
        .size:           8
        .value_kind:     global_buffer
      - .offset:         48
        .size:           8
        .value_kind:     by_value
      - .offset:         56
        .size:           8
        .value_kind:     by_value
      - .offset:         64
        .size:           8
        .value_kind:     by_value
      - .offset:         72
        .size:           16
        .value_kind:     by_value
      - .offset:         88
        .size:           8
        .value_kind:     by_value
      - .offset:         96
        .size:           16
        .value_kind:     by_value
      - .offset:         112
        .size:           8
        .value_kind:     by_value
      - .offset:         120
        .size:           4
        .value_kind:     by_value
      - .offset:         128
        .size:           4
        .value_kind:     hidden_block_count_x
      - .offset:         132
        .size:           4
        .value_kind:     hidden_block_count_y
      - .offset:         136
        .size:           4
        .value_kind:     hidden_block_count_z
      - .offset:         140
        .size:           2
        .value_kind:     hidden_group_size_x
      - .offset:         142
        .size:           2
        .value_kind:     hidden_group_size_y
      - .offset:         144
        .size:           2
        .value_kind:     hidden_group_size_z
      - .offset:         146
        .size:           2
        .value_kind:     hidden_remainder_x
      - .offset:         148
        .size:           2
        .value_kind:     hidden_remainder_y
      - .offset:         150
        .size:           2
        .value_kind:     hidden_remainder_z
      - .offset:         168
        .size:           8
        .value_kind:     hidden_global_offset_x
      - .offset:         176
        .size:           8
        .value_kind:     hidden_global_offset_y
      - .offset:         184
        .size:           8
        .value_kind:     hidden_global_offset_z
      - .offset:         192
        .size:           2
        .value_kind:     hidden_grid_dims
    .group_segment_fixed_size: 0
    .kernarg_segment_align: 8
    .kernarg_segment_size: 384
    .language:       OpenCL C
    .language_version:
      - 2
      - 0
    .max_flat_workgroup_size: 512
    .name:           _ZL18rocblas_rot_kernelIiLi512E19rocblas_complex_numIdEPKPS1_S4_S1_S1_EviT2_lllT3_lllT4_lT5_li
    .private_segment_fixed_size: 0
    .sgpr_count:     22
    .sgpr_spill_count: 0
    .symbol:         _ZL18rocblas_rot_kernelIiLi512E19rocblas_complex_numIdEPKPS1_S4_S1_S1_EviT2_lllT3_lllT4_lT5_li.kd
    .uniform_work_group_size: 1
    .uses_dynamic_stack: false
    .vgpr_count:     19
    .vgpr_spill_count: 0
    .wavefront_size: 64
  - .args:
      - .offset:         0
        .size:           4
        .value_kind:     by_value
      - .address_space:  global
        .offset:         8
        .size:           8
        .value_kind:     global_buffer
      - .offset:         16
        .size:           8
        .value_kind:     by_value
      - .offset:         24
        .size:           8
        .value_kind:     by_value
      - .offset:         32
        .size:           8
        .value_kind:     by_value
      - .address_space:  global
        .offset:         40
        .size:           8
        .value_kind:     global_buffer
      - .offset:         48
        .size:           8
        .value_kind:     by_value
      - .offset:         56
        .size:           8
        .value_kind:     by_value
      - .offset:         64
        .size:           8
        .value_kind:     by_value
      - .address_space:  global
        .offset:         72
        .size:           8
        .value_kind:     global_buffer
      - .offset:         80
        .size:           8
        .value_kind:     by_value
      - .address_space:  global
        .offset:         88
        .size:           8
        .value_kind:     global_buffer
      - .offset:         96
        .size:           8
        .value_kind:     by_value
      - .offset:         104
        .size:           4
        .value_kind:     by_value
      - .offset:         112
        .size:           4
        .value_kind:     hidden_block_count_x
      - .offset:         116
        .size:           4
        .value_kind:     hidden_block_count_y
      - .offset:         120
        .size:           4
        .value_kind:     hidden_block_count_z
      - .offset:         124
        .size:           2
        .value_kind:     hidden_group_size_x
      - .offset:         126
        .size:           2
        .value_kind:     hidden_group_size_y
      - .offset:         128
        .size:           2
        .value_kind:     hidden_group_size_z
      - .offset:         130
        .size:           2
        .value_kind:     hidden_remainder_x
      - .offset:         132
        .size:           2
        .value_kind:     hidden_remainder_y
      - .offset:         134
        .size:           2
        .value_kind:     hidden_remainder_z
      - .offset:         152
        .size:           8
        .value_kind:     hidden_global_offset_x
      - .offset:         160
        .size:           8
        .value_kind:     hidden_global_offset_y
      - .offset:         168
        .size:           8
        .value_kind:     hidden_global_offset_z
      - .offset:         176
        .size:           2
        .value_kind:     hidden_grid_dims
    .group_segment_fixed_size: 0
    .kernarg_segment_align: 8
    .kernarg_segment_size: 368
    .language:       OpenCL C
    .language_version:
      - 2
      - 0
    .max_flat_workgroup_size: 512
    .name:           _ZL18rocblas_rot_kernelIiLi512E19rocblas_complex_numIdEPKPS1_S4_PKdS6_EviT2_lllT3_lllT4_lT5_li
    .private_segment_fixed_size: 0
    .sgpr_count:     24
    .sgpr_spill_count: 0
    .symbol:         _ZL18rocblas_rot_kernelIiLi512E19rocblas_complex_numIdEPKPS1_S4_PKdS6_EviT2_lllT3_lllT4_lT5_li.kd
    .uniform_work_group_size: 1
    .uses_dynamic_stack: false
    .vgpr_count:     18
    .vgpr_spill_count: 0
    .wavefront_size: 64
  - .args:
      - .offset:         0
        .size:           4
        .value_kind:     by_value
      - .address_space:  global
        .offset:         8
        .size:           8
        .value_kind:     global_buffer
      - .offset:         16
        .size:           8
        .value_kind:     by_value
      - .offset:         24
        .size:           8
        .value_kind:     by_value
      - .offset:         32
        .size:           8
        .value_kind:     by_value
      - .address_space:  global
        .offset:         40
        .size:           8
        .value_kind:     global_buffer
      - .offset:         48
        .size:           8
        .value_kind:     by_value
      - .offset:         56
        .size:           8
        .value_kind:     by_value
      - .offset:         64
        .size:           8
        .value_kind:     by_value
      - .offset:         72
        .size:           8
        .value_kind:     by_value
      - .offset:         80
        .size:           8
        .value_kind:     by_value
      - .offset:         88
        .size:           8
        .value_kind:     by_value
      - .offset:         96
        .size:           8
        .value_kind:     by_value
      - .offset:         104
        .size:           4
        .value_kind:     by_value
      - .offset:         112
        .size:           4
        .value_kind:     hidden_block_count_x
      - .offset:         116
        .size:           4
        .value_kind:     hidden_block_count_y
      - .offset:         120
        .size:           4
        .value_kind:     hidden_block_count_z
      - .offset:         124
        .size:           2
        .value_kind:     hidden_group_size_x
      - .offset:         126
        .size:           2
        .value_kind:     hidden_group_size_y
      - .offset:         128
        .size:           2
        .value_kind:     hidden_group_size_z
      - .offset:         130
        .size:           2
        .value_kind:     hidden_remainder_x
      - .offset:         132
        .size:           2
        .value_kind:     hidden_remainder_y
      - .offset:         134
        .size:           2
        .value_kind:     hidden_remainder_z
      - .offset:         152
        .size:           8
        .value_kind:     hidden_global_offset_x
      - .offset:         160
        .size:           8
        .value_kind:     hidden_global_offset_y
      - .offset:         168
        .size:           8
        .value_kind:     hidden_global_offset_z
      - .offset:         176
        .size:           2
        .value_kind:     hidden_grid_dims
    .group_segment_fixed_size: 0
    .kernarg_segment_align: 8
    .kernarg_segment_size: 368
    .language:       OpenCL C
    .language_version:
      - 2
      - 0
    .max_flat_workgroup_size: 512
    .name:           _ZL18rocblas_rot_kernelIiLi512E19rocblas_complex_numIdEPKPS1_S4_ddEviT2_lllT3_lllT4_lT5_li
    .private_segment_fixed_size: 0
    .sgpr_count:     22
    .sgpr_spill_count: 0
    .symbol:         _ZL18rocblas_rot_kernelIiLi512E19rocblas_complex_numIdEPKPS1_S4_ddEviT2_lllT3_lllT4_lT5_li.kd
    .uniform_work_group_size: 1
    .uses_dynamic_stack: false
    .vgpr_count:     18
    .vgpr_spill_count: 0
    .wavefront_size: 64
  - .args:
      - .offset:         0
        .size:           4
        .value_kind:     by_value
      - .address_space:  global
        .offset:         8
        .size:           8
        .value_kind:     global_buffer
      - .offset:         16
        .size:           8
        .value_kind:     by_value
      - .offset:         24
        .size:           8
        .value_kind:     by_value
      - .offset:         32
        .size:           8
        .value_kind:     by_value
      - .address_space:  global
        .offset:         40
        .size:           8
        .value_kind:     global_buffer
      - .offset:         48
        .size:           8
        .value_kind:     by_value
      - .offset:         56
        .size:           8
        .value_kind:     by_value
      - .offset:         64
        .size:           8
        .value_kind:     by_value
      - .address_space:  global
        .offset:         72
        .size:           8
        .value_kind:     global_buffer
      - .offset:         80
        .size:           8
        .value_kind:     by_value
      - .address_space:  global
        .offset:         88
        .size:           8
        .value_kind:     global_buffer
      - .offset:         96
        .size:           8
        .value_kind:     by_value
      - .offset:         104
        .size:           4
        .value_kind:     by_value
      - .offset:         112
        .size:           4
        .value_kind:     hidden_block_count_x
      - .offset:         116
        .size:           4
        .value_kind:     hidden_block_count_y
      - .offset:         120
        .size:           4
        .value_kind:     hidden_block_count_z
      - .offset:         124
        .size:           2
        .value_kind:     hidden_group_size_x
      - .offset:         126
        .size:           2
        .value_kind:     hidden_group_size_y
      - .offset:         128
        .size:           2
        .value_kind:     hidden_group_size_z
      - .offset:         130
        .size:           2
        .value_kind:     hidden_remainder_x
      - .offset:         132
        .size:           2
        .value_kind:     hidden_remainder_y
      - .offset:         134
        .size:           2
        .value_kind:     hidden_remainder_z
      - .offset:         152
        .size:           8
        .value_kind:     hidden_global_offset_x
      - .offset:         160
        .size:           8
        .value_kind:     hidden_global_offset_y
      - .offset:         168
        .size:           8
        .value_kind:     hidden_global_offset_z
      - .offset:         176
        .size:           2
        .value_kind:     hidden_grid_dims
    .group_segment_fixed_size: 0
    .kernarg_segment_align: 8
    .kernarg_segment_size: 368
    .language:       OpenCL C
    .language_version:
      - 2
      - 0
    .max_flat_workgroup_size: 512
    .name:           _ZL18rocblas_rot_kernelIiLi512E19rocblas_complex_numIdEPKPS1_S4_PKdPKS1_EviT2_lllT3_lllT4_lT5_li
    .private_segment_fixed_size: 0
    .sgpr_count:     28
    .sgpr_spill_count: 0
    .symbol:         _ZL18rocblas_rot_kernelIiLi512E19rocblas_complex_numIdEPKPS1_S4_PKdPKS1_EviT2_lllT3_lllT4_lT5_li.kd
    .uniform_work_group_size: 1
    .uses_dynamic_stack: false
    .vgpr_count:     19
    .vgpr_spill_count: 0
    .wavefront_size: 64
  - .args:
      - .offset:         0
        .size:           4
        .value_kind:     by_value
      - .address_space:  global
        .offset:         8
        .size:           8
        .value_kind:     global_buffer
      - .offset:         16
        .size:           8
        .value_kind:     by_value
      - .offset:         24
        .size:           8
        .value_kind:     by_value
      - .offset:         32
        .size:           8
        .value_kind:     by_value
      - .address_space:  global
        .offset:         40
        .size:           8
        .value_kind:     global_buffer
      - .offset:         48
        .size:           8
        .value_kind:     by_value
      - .offset:         56
        .size:           8
        .value_kind:     by_value
      - .offset:         64
        .size:           8
        .value_kind:     by_value
      - .offset:         72
        .size:           8
        .value_kind:     by_value
      - .offset:         80
        .size:           8
        .value_kind:     by_value
      - .offset:         88
        .size:           16
        .value_kind:     by_value
      - .offset:         104
        .size:           8
        .value_kind:     by_value
      - .offset:         112
        .size:           4
        .value_kind:     by_value
      - .offset:         120
        .size:           4
        .value_kind:     hidden_block_count_x
      - .offset:         124
        .size:           4
        .value_kind:     hidden_block_count_y
      - .offset:         128
        .size:           4
        .value_kind:     hidden_block_count_z
      - .offset:         132
        .size:           2
        .value_kind:     hidden_group_size_x
      - .offset:         134
        .size:           2
        .value_kind:     hidden_group_size_y
      - .offset:         136
        .size:           2
        .value_kind:     hidden_group_size_z
      - .offset:         138
        .size:           2
        .value_kind:     hidden_remainder_x
      - .offset:         140
        .size:           2
        .value_kind:     hidden_remainder_y
      - .offset:         142
        .size:           2
        .value_kind:     hidden_remainder_z
      - .offset:         160
        .size:           8
        .value_kind:     hidden_global_offset_x
      - .offset:         168
        .size:           8
        .value_kind:     hidden_global_offset_y
      - .offset:         176
        .size:           8
        .value_kind:     hidden_global_offset_z
      - .offset:         184
        .size:           2
        .value_kind:     hidden_grid_dims
    .group_segment_fixed_size: 0
    .kernarg_segment_align: 8
    .kernarg_segment_size: 376
    .language:       OpenCL C
    .language_version:
      - 2
      - 0
    .max_flat_workgroup_size: 512
    .name:           _ZL18rocblas_rot_kernelIiLi512E19rocblas_complex_numIdEPKPS1_S4_dS1_EviT2_lllT3_lllT4_lT5_li
    .private_segment_fixed_size: 0
    .sgpr_count:     22
    .sgpr_spill_count: 0
    .symbol:         _ZL18rocblas_rot_kernelIiLi512E19rocblas_complex_numIdEPKPS1_S4_dS1_EviT2_lllT3_lllT4_lT5_li.kd
    .uniform_work_group_size: 1
    .uses_dynamic_stack: false
    .vgpr_count:     19
    .vgpr_spill_count: 0
    .wavefront_size: 64
amdhsa.target:   amdgcn-amd-amdhsa--gfx906
amdhsa.version:
  - 1
  - 2
...

	.end_amdgpu_metadata
